;; amdgpu-corpus repo=ROCm/rocFFT kind=compiled arch=gfx90a opt=O3
	.text
	.amdgcn_target "amdgcn-amd-amdhsa--gfx90a"
	.amdhsa_code_object_version 6
	.protected	bluestein_single_fwd_len2028_dim1_dp_op_CI_CI ; -- Begin function bluestein_single_fwd_len2028_dim1_dp_op_CI_CI
	.globl	bluestein_single_fwd_len2028_dim1_dp_op_CI_CI
	.p2align	8
	.type	bluestein_single_fwd_len2028_dim1_dp_op_CI_CI,@function
bluestein_single_fwd_len2028_dim1_dp_op_CI_CI: ; @bluestein_single_fwd_len2028_dim1_dp_op_CI_CI
; %bb.0:
	s_load_dwordx4 s[8:11], s[4:5], 0x28
	v_mul_u32_u24_e32 v1, 0x1a5, v0
	v_add_u32_sdwa v6, s6, v1 dst_sel:DWORD dst_unused:UNUSED_PAD src0_sel:DWORD src1_sel:WORD_1
	v_mov_b32_e32 v7, 0
	s_waitcnt lgkmcnt(0)
	v_cmp_gt_u64_e32 vcc, s[8:9], v[6:7]
	s_and_saveexec_b64 s[0:1], vcc
	s_cbranch_execz .LBB0_18
; %bb.1:
	s_load_dwordx4 s[16:19], s[4:5], 0x18
	s_load_dwordx4 s[12:15], s[4:5], 0x0
	s_movk_i32 s6, 0x9c
	v_mul_lo_u16_sdwa v1, v1, s6 dst_sel:DWORD dst_unused:UNUSED_PAD src0_sel:WORD_1 src1_sel:DWORD
	v_sub_u16_e32 v14, v0, v1
	s_waitcnt lgkmcnt(0)
	s_load_dwordx4 s[0:3], s[16:17], 0x0
	v_mov_b32_e32 v9, 0x9c0
	v_lshlrev_b32_e32 v253, 4, v14
	v_accvgpr_write_b32 a2, v6
	s_mov_b32 s28, 0x42a4c3d2
	s_waitcnt lgkmcnt(0)
	v_mad_u64_u32 v[0:1], s[6:7], s2, v6, 0
	v_mov_b32_e32 v4, v1
	v_mad_u64_u32 v[2:3], s[6:7], s0, v14, 0
	v_mad_u64_u32 v[4:5], s[2:3], s3, v6, v[4:5]
	v_mov_b32_e32 v1, v4
	v_mov_b32_e32 v4, v3
	v_mad_u64_u32 v[4:5], s[2:3], s1, v14, v[4:5]
	v_lshlrev_b64 v[0:1], 4, v[0:1]
	v_mov_b32_e32 v3, v4
	v_mov_b32_e32 v4, s11
	v_add_co_u32_e32 v5, vcc, s10, v0
	v_addc_co_u32_e32 v4, vcc, v4, v1, vcc
	v_lshlrev_b64 v[0:1], 4, v[2:3]
	v_add_co_u32_e32 v0, vcc, v5, v0
	v_addc_co_u32_e32 v1, vcc, v4, v1, vcc
	global_load_dwordx4 v[52:55], v[0:1], off
	v_mad_u64_u32 v[0:1], s[6:7], s0, v9, v[0:1]
	s_mulk_i32 s1, 0x9c0
	v_mov_b32_e32 v2, s13
	v_add_co_u32_e64 v252, s[2:3], s12, v253
	v_add_u32_e32 v1, s1, v1
	v_addc_co_u32_e64 v8, vcc, 0, v2, s[2:3]
	v_mad_u64_u32 v[2:3], s[6:7], s0, v9, v[0:1]
	v_add_u32_e32 v3, s1, v3
	s_movk_i32 s6, 0x1000
	global_load_dwordx4 v[20:23], v253, s[12:13]
	global_load_dwordx4 v[10:13], v253, s[12:13] offset:2496
	global_load_dwordx4 v[60:63], v[0:1], off
	global_load_dwordx4 v[56:59], v[2:3], off
	v_add_co_u32_e32 v0, vcc, s6, v252
	v_mad_u64_u32 v[2:3], s[6:7], s0, v9, v[2:3]
	v_addc_co_u32_e32 v1, vcc, 0, v8, vcc
	v_add_u32_e32 v3, s1, v3
	global_load_dwordx4 v[24:27], v[0:1], off offset:896
	global_load_dwordx4 v[16:19], v[0:1], off offset:3392
	v_mad_u64_u32 v[0:1], s[6:7], s0, v9, v[2:3]
	v_add_u32_e32 v1, s1, v1
	s_movk_i32 s6, 0x2000
	global_load_dwordx4 v[68:71], v[2:3], off
	global_load_dwordx4 v[64:67], v[0:1], off
	v_add_co_u32_e32 v2, vcc, s6, v252
	v_mad_u64_u32 v[0:1], s[6:7], s0, v9, v[0:1]
	v_addc_co_u32_e32 v3, vcc, 0, v8, vcc
	v_add_u32_e32 v1, s1, v1
	s_movk_i32 s6, 0x3000
	v_add_co_u32_e32 v4, vcc, s6, v252
	v_mad_u64_u32 v[6:7], s[6:7], s0, v9, v[0:1]
	v_add_u32_e32 v7, s1, v7
	global_load_dwordx4 v[72:75], v[0:1], off
	v_addc_co_u32_e32 v5, vcc, 0, v8, vcc
	global_load_dwordx4 v[42:45], v[2:3], off offset:1792
	global_load_dwordx4 v[28:31], v[4:5], off offset:192
	s_mov_b32 s38, 0x66966769
	global_load_dwordx4 v[0:3], v[6:7], off
	v_mad_u64_u32 v[6:7], s[6:7], s0, v9, v[6:7]
	s_movk_i32 s6, 0x4000
	v_add_u32_e32 v7, s1, v7
	v_add_co_u32_e32 v32, vcc, s6, v252
	global_load_dwordx4 v[76:79], v[6:7], off
	v_addc_co_u32_e32 v33, vcc, 0, v8, vcc
	global_load_dwordx4 v[108:111], v[4:5], off offset:2688
	global_load_dwordx4 v[34:37], v[32:33], off offset:1088
	v_mad_u64_u32 v[4:5], s[6:7], s0, v9, v[6:7]
	v_add_u32_e32 v5, s1, v5
	global_load_dwordx4 v[80:83], v[4:5], off
	v_mad_u64_u32 v[4:5], s[6:7], s0, v9, v[4:5]
	v_add_u32_e32 v5, s1, v5
	s_movk_i32 s6, 0x5000
	global_load_dwordx4 v[84:87], v[4:5], off
	v_add_co_u32_e32 v6, vcc, s6, v252
	v_mad_u64_u32 v[4:5], s[6:7], s0, v9, v[4:5]
	v_addc_co_u32_e32 v7, vcc, 0, v8, vcc
	global_load_dwordx4 v[112:115], v[32:33], off offset:3584
	global_load_dwordx4 v[38:41], v[6:7], off offset:1984
	v_add_u32_e32 v5, s1, v5
	s_movk_i32 s6, 0x6000
	global_load_dwordx4 v[88:91], v[4:5], off
	v_add_co_u32_e32 v6, vcc, s6, v252
	v_mad_u64_u32 v[4:5], s[6:7], s0, v9, v[4:5]
	v_add_u32_e32 v5, s1, v5
	v_addc_co_u32_e32 v7, vcc, 0, v8, vcc
	global_load_dwordx4 v[92:95], v[4:5], off
	global_load_dwordx4 v[48:51], v[6:7], off offset:384
	global_load_dwordx4 v[104:107], v[6:7], off offset:2880
	v_mad_u64_u32 v[4:5], s[6:7], s0, v9, v[4:5]
	v_add_u32_e32 v5, s1, v5
	s_movk_i32 s0, 0x7000
	global_load_dwordx4 v[96:99], v[4:5], off
	v_add_co_u32_e32 v4, vcc, s0, v252
	v_addc_co_u32_e32 v5, vcc, 0, v8, vcc
	global_load_dwordx4 v[6:9], v[4:5], off offset:1280
	s_waitcnt vmcnt(24)
	v_mul_f64 v[100:101], v[54:55], v[22:23]
	v_mul_f64 v[4:5], v[52:53], v[22:23]
	v_fmac_f64_e32 v[100:101], v[52:53], v[20:21]
	v_fma_f64 v[102:103], v[54:55], v[20:21], -v[4:5]
	s_waitcnt vmcnt(22)
	v_mul_f64 v[52:53], v[62:63], v[12:13]
	v_mul_f64 v[4:5], v[60:61], v[12:13]
	v_fmac_f64_e32 v[52:53], v[60:61], v[10:11]
	v_fma_f64 v[54:55], v[62:63], v[10:11], -v[4:5]
	s_load_dwordx2 s[6:7], s[4:5], 0x38
	s_load_dwordx4 s[8:11], s[18:19], 0x0
	ds_write_b128 v253, v[52:55] offset:2496
	s_waitcnt vmcnt(20)
	v_mul_f64 v[52:53], v[58:59], v[26:27]
	v_mul_f64 v[4:5], v[56:57], v[26:27]
	v_fmac_f64_e32 v[52:53], v[56:57], v[24:25]
	v_fma_f64 v[54:55], v[58:59], v[24:25], -v[4:5]
	ds_write_b128 v253, v[52:55] offset:4992
	s_waitcnt vmcnt(18)
	v_mul_f64 v[52:53], v[70:71], v[18:19]
	v_mul_f64 v[4:5], v[68:69], v[18:19]
	v_fmac_f64_e32 v[52:53], v[68:69], v[16:17]
	v_fma_f64 v[54:55], v[70:71], v[16:17], -v[4:5]
	ds_write_b128 v253, v[52:55] offset:7488
	ds_write_b128 v253, v[100:103]
	s_mov_b32 s22, 0x2ef20147
	s_mov_b32 s26, 0x24c2f84
	;; [unrolled: 1-line block ×8, first 2 shown]
	s_waitcnt vmcnt(15)
	v_mul_f64 v[52:53], v[66:67], v[44:45]
	v_mul_f64 v[4:5], v[64:65], v[44:45]
	v_fmac_f64_e32 v[52:53], v[64:65], v[42:43]
	v_fma_f64 v[54:55], v[66:67], v[42:43], -v[4:5]
	ds_write_b128 v253, v[52:55] offset:9984
	s_waitcnt vmcnt(14)
	v_mul_f64 v[52:53], v[74:75], v[30:31]
	v_mul_f64 v[4:5], v[72:73], v[30:31]
	v_fmac_f64_e32 v[52:53], v[72:73], v[28:29]
	v_fma_f64 v[54:55], v[74:75], v[28:29], -v[4:5]
	ds_write_b128 v253, v[52:55] offset:12480
	s_mov_b32 s39, 0xbfefc445
	s_mov_b32 s0, 0xebaa3ed8
	s_waitcnt vmcnt(11)
	v_mul_f64 v[52:53], v[2:3], v[110:111]
	v_fmac_f64_e32 v[52:53], v[0:1], v[108:109]
	v_mul_f64 v[0:1], v[0:1], v[110:111]
	v_fma_f64 v[54:55], v[2:3], v[108:109], -v[0:1]
	s_waitcnt vmcnt(10)
	v_mul_f64 v[0:1], v[78:79], v[36:37]
	v_mul_f64 v[2:3], v[76:77], v[36:37]
	v_fmac_f64_e32 v[0:1], v[76:77], v[34:35]
	v_fma_f64 v[2:3], v[78:79], v[34:35], -v[2:3]
	ds_write_b128 v253, v[0:3] offset:17472
	ds_write_b128 v253, v[52:55] offset:14976
	s_mov_b32 s23, 0xbfedeba7
	s_mov_b32 s20, 0xb2365da1
	;; [unrolled: 1-line block ×6, first 2 shown]
	s_waitcnt vmcnt(7)
	v_mul_f64 v[0:1], v[82:83], v[114:115]
	v_mul_f64 v[2:3], v[80:81], v[114:115]
	v_fmac_f64_e32 v[0:1], v[80:81], v[112:113]
	v_fma_f64 v[2:3], v[82:83], v[112:113], -v[2:3]
	ds_write_b128 v253, v[0:3] offset:19968
	s_waitcnt vmcnt(6)
	v_mul_f64 v[0:1], v[86:87], v[40:41]
	v_mul_f64 v[2:3], v[84:85], v[40:41]
	v_fmac_f64_e32 v[0:1], v[84:85], v[38:39]
	v_fma_f64 v[2:3], v[86:87], v[38:39], -v[2:3]
	ds_write_b128 v253, v[0:3] offset:22464
	v_accvgpr_write_b32 a48, v112
	s_waitcnt vmcnt(3)
	v_mul_f64 v[0:1], v[90:91], v[50:51]
	v_mul_f64 v[2:3], v[88:89], v[50:51]
	v_fmac_f64_e32 v[0:1], v[88:89], v[48:49]
	v_fma_f64 v[2:3], v[90:91], v[48:49], -v[2:3]
	ds_write_b128 v253, v[0:3] offset:24960
	s_waitcnt vmcnt(2)
	v_mul_f64 v[0:1], v[94:95], v[106:107]
	v_mul_f64 v[2:3], v[92:93], v[106:107]
	v_fmac_f64_e32 v[0:1], v[92:93], v[104:105]
	v_fma_f64 v[2:3], v[94:95], v[104:105], -v[2:3]
	ds_write_b128 v253, v[0:3] offset:27456
	v_accvgpr_write_b32 a36, v104
	s_waitcnt vmcnt(0)
	v_mul_f64 v[0:1], v[98:99], v[8:9]
	v_mul_f64 v[2:3], v[96:97], v[8:9]
	v_fmac_f64_e32 v[0:1], v[96:97], v[6:7]
	v_fma_f64 v[2:3], v[98:99], v[6:7], -v[2:3]
	v_accvgpr_write_b32 a47, v9
	ds_write_b128 v253, v[0:3] offset:29952
	s_waitcnt lgkmcnt(0)
	s_barrier
	ds_read_b128 v[84:87], v253
	ds_read_b128 v[0:3], v253 offset:2496
	ds_read_b128 v[92:95], v253 offset:4992
	;; [unrolled: 1-line block ×12, first 2 shown]
	s_waitcnt lgkmcnt(11)
	v_add_f64 v[4:5], v[84:85], v[0:1]
	v_accvgpr_write_b32 a46, v8
	v_accvgpr_write_b32 a45, v7
	;; [unrolled: 1-line block ×3, first 2 shown]
	v_add_f64 v[6:7], v[86:87], v[2:3]
	s_waitcnt lgkmcnt(10)
	v_add_f64 v[4:5], v[4:5], v[92:93]
	v_add_f64 v[6:7], v[6:7], v[94:95]
	s_waitcnt lgkmcnt(9)
	v_add_f64 v[4:5], v[4:5], v[80:81]
	;; [unrolled: 3-line block ×11, first 2 shown]
	v_add_f64 v[4:5], v[0:1], v[100:101]
	v_add_f64 v[0:1], v[0:1], -v[100:101]
	v_accvgpr_write_b32 a40, v108
	v_accvgpr_write_b32 a49, v113
	;; [unrolled: 1-line block ×7, first 2 shown]
	v_add_f64 v[54:55], v[6:7], v[102:103]
	v_add_f64 v[6:7], v[2:3], v[102:103]
	v_add_f64 v[2:3], v[2:3], -v[102:103]
	s_mov_b32 s17, 0x3fec55a7
	v_mul_f64 v[104:105], v[0:1], s[18:19]
	s_mov_b32 s5, 0x3fe22d96
	v_mul_f64 v[112:113], v[0:1], s[28:29]
	;; [unrolled: 2-line block ×6, first 2 shown]
	v_accvgpr_write_b32 a41, v109
	v_accvgpr_write_b32 a42, v110
	;; [unrolled: 1-line block ×3, first 2 shown]
	v_mul_f64 v[100:101], v[2:3], s[18:19]
	v_fma_f64 v[106:107], s[16:17], v[6:7], v[104:105]
	v_fma_f64 v[104:105], v[6:7], s[16:17], -v[104:105]
	v_mul_f64 v[108:109], v[2:3], s[28:29]
	v_fma_f64 v[114:115], s[4:5], v[6:7], v[112:113]
	v_fma_f64 v[112:113], v[6:7], s[4:5], -v[112:113]
	;; [unrolled: 3-line block ×6, first 2 shown]
	v_fma_f64 v[102:103], v[4:5], s[16:17], -v[100:101]
	v_add_f64 v[106:107], v[86:87], v[106:107]
	v_fmac_f64_e32 v[100:101], s[16:17], v[4:5]
	v_add_f64 v[104:105], v[86:87], v[104:105]
	v_fma_f64 v[110:111], v[4:5], s[4:5], -v[108:109]
	v_add_f64 v[114:115], v[86:87], v[114:115]
	v_fmac_f64_e32 v[108:109], s[4:5], v[4:5]
	v_add_f64 v[112:113], v[86:87], v[112:113]
	;; [unrolled: 4-line block ×6, first 2 shown]
	v_add_f64 v[86:87], v[94:95], -v[98:99]
	v_add_f64 v[102:103], v[84:85], v[102:103]
	v_add_f64 v[100:101], v[84:85], v[100:101]
	;; [unrolled: 1-line block ×13, first 2 shown]
	v_add_f64 v[84:85], v[92:93], -v[96:97]
	v_mul_f64 v[92:93], v[86:87], s[28:29]
	v_add_f64 v[6:7], v[94:95], v[98:99]
	v_fma_f64 v[94:95], v[4:5], s[4:5], -v[92:93]
	v_mul_f64 v[96:97], v[84:85], s[28:29]
	v_fmac_f64_e32 v[92:93], s[4:5], v[4:5]
	v_fma_f64 v[98:99], s[4:5], v[6:7], v[96:97]
	v_add_f64 v[92:93], v[92:93], v[100:101]
	v_fma_f64 v[96:97], v[6:7], s[4:5], -v[96:97]
	v_mul_f64 v[100:101], v[86:87], s[22:23]
	v_add_f64 v[94:95], v[94:95], v[102:103]
	v_add_f64 v[96:97], v[96:97], v[104:105]
	v_fma_f64 v[102:103], v[4:5], s[20:21], -v[100:101]
	v_mul_f64 v[104:105], v[84:85], s[22:23]
	v_fmac_f64_e32 v[100:101], s[20:21], v[4:5]
	v_add_f64 v[98:99], v[98:99], v[106:107]
	v_fma_f64 v[106:107], s[20:21], v[6:7], v[104:105]
	v_add_f64 v[100:101], v[100:101], v[108:109]
	v_fma_f64 v[104:105], v[6:7], s[20:21], -v[104:105]
	v_mul_f64 v[108:109], v[86:87], s[36:37]
	v_add_f64 v[102:103], v[102:103], v[110:111]
	v_add_f64 v[104:105], v[104:105], v[112:113]
	v_fma_f64 v[110:111], v[4:5], s[34:35], -v[108:109]
	v_mul_f64 v[112:113], v[84:85], s[36:37]
	v_fmac_f64_e32 v[108:109], s[34:35], v[4:5]
	s_mov_b32 s41, 0x3fe5384d
	s_mov_b32 s40, s26
	v_add_f64 v[106:107], v[106:107], v[114:115]
	v_fma_f64 v[114:115], s[34:35], v[6:7], v[112:113]
	v_add_f64 v[108:109], v[108:109], v[116:117]
	v_fma_f64 v[112:113], v[6:7], s[34:35], -v[112:113]
	v_mul_f64 v[116:117], v[86:87], s[40:41]
	v_add_f64 v[110:111], v[110:111], v[118:119]
	v_add_f64 v[112:113], v[112:113], v[120:121]
	v_fma_f64 v[118:119], v[4:5], s[24:25], -v[116:117]
	v_mul_f64 v[120:121], v[84:85], s[40:41]
	v_fmac_f64_e32 v[116:117], s[24:25], v[4:5]
	s_mov_b32 s31, 0x3fefc445
	s_mov_b32 s30, s38
	v_add_f64 v[114:115], v[114:115], v[122:123]
	v_fma_f64 v[122:123], s[24:25], v[6:7], v[120:121]
	v_add_f64 v[116:117], v[116:117], v[124:125]
	v_fma_f64 v[120:121], v[6:7], s[24:25], -v[120:121]
	v_mul_f64 v[124:125], v[86:87], s[30:31]
	s_mov_b32 s19, 0x3fddbe06
	v_add_f64 v[118:119], v[118:119], v[126:127]
	v_add_f64 v[120:121], v[120:121], v[128:129]
	v_fma_f64 v[126:127], v[4:5], s[0:1], -v[124:125]
	v_mul_f64 v[128:129], v[84:85], s[30:31]
	v_fmac_f64_e32 v[124:125], s[0:1], v[4:5]
	v_mul_f64 v[86:87], v[86:87], s[18:19]
	v_mul_f64 v[84:85], v[84:85], s[18:19]
	v_add_f64 v[122:123], v[122:123], v[130:131]
	v_add_f64 v[126:127], v[126:127], v[134:135]
	v_fma_f64 v[130:131], s[0:1], v[6:7], v[128:129]
	v_add_f64 v[124:125], v[124:125], v[132:133]
	v_fma_f64 v[128:129], v[6:7], s[0:1], -v[128:129]
	v_fma_f64 v[132:133], v[4:5], s[16:17], -v[86:87]
	v_fma_f64 v[134:135], s[16:17], v[6:7], v[84:85]
	v_fmac_f64_e32 v[86:87], s[16:17], v[4:5]
	v_fma_f64 v[4:5], v[6:7], s[16:17], -v[84:85]
	v_add_f64 v[6:7], v[82:83], v[90:91]
	v_add_f64 v[82:83], v[82:83], -v[90:91]
	v_add_f64 v[0:1], v[4:5], v[0:1]
	v_add_f64 v[4:5], v[80:81], v[88:89]
	v_add_f64 v[80:81], v[80:81], -v[88:89]
	v_mul_f64 v[84:85], v[82:83], s[38:39]
	v_add_f64 v[2:3], v[86:87], v[2:3]
	v_fma_f64 v[86:87], v[4:5], s[0:1], -v[84:85]
	v_mul_f64 v[88:89], v[80:81], s[38:39]
	v_fmac_f64_e32 v[84:85], s[0:1], v[4:5]
	v_fma_f64 v[90:91], s[0:1], v[6:7], v[88:89]
	v_add_f64 v[84:85], v[84:85], v[92:93]
	v_fma_f64 v[88:89], v[6:7], s[0:1], -v[88:89]
	v_mul_f64 v[92:93], v[82:83], s[36:37]
	v_add_f64 v[86:87], v[86:87], v[94:95]
	v_add_f64 v[88:89], v[88:89], v[96:97]
	v_fma_f64 v[94:95], v[4:5], s[34:35], -v[92:93]
	v_mul_f64 v[96:97], v[80:81], s[36:37]
	v_fmac_f64_e32 v[92:93], s[34:35], v[4:5]
	s_mov_b32 s43, 0x3fedeba7
	s_mov_b32 s42, s22
	v_add_f64 v[90:91], v[90:91], v[98:99]
	v_fma_f64 v[98:99], s[34:35], v[6:7], v[96:97]
	v_add_f64 v[92:93], v[92:93], v[100:101]
	v_fma_f64 v[96:97], v[6:7], s[34:35], -v[96:97]
	v_mul_f64 v[100:101], v[82:83], s[42:43]
	v_add_f64 v[94:95], v[94:95], v[102:103]
	v_add_f64 v[96:97], v[96:97], v[104:105]
	v_fma_f64 v[102:103], v[4:5], s[20:21], -v[100:101]
	v_mul_f64 v[104:105], v[80:81], s[42:43]
	v_fmac_f64_e32 v[100:101], s[20:21], v[4:5]
	v_add_f64 v[98:99], v[98:99], v[106:107]
	v_fma_f64 v[106:107], s[20:21], v[6:7], v[104:105]
	v_add_f64 v[100:101], v[100:101], v[108:109]
	v_fma_f64 v[104:105], v[6:7], s[20:21], -v[104:105]
	v_mul_f64 v[108:109], v[82:83], s[18:19]
	v_add_f64 v[102:103], v[102:103], v[110:111]
	v_add_f64 v[104:105], v[104:105], v[112:113]
	v_fma_f64 v[110:111], v[4:5], s[16:17], -v[108:109]
	v_mul_f64 v[112:113], v[80:81], s[18:19]
	v_fmac_f64_e32 v[108:109], s[16:17], v[4:5]
	;; [unrolled: 10-line block ×3, first 2 shown]
	v_mul_f64 v[82:83], v[82:83], s[26:27]
	v_mul_f64 v[80:81], v[80:81], s[26:27]
	v_add_f64 v[114:115], v[114:115], v[122:123]
	v_add_f64 v[118:119], v[118:119], v[126:127]
	v_fma_f64 v[122:123], s[4:5], v[6:7], v[120:121]
	v_add_f64 v[116:117], v[116:117], v[124:125]
	v_fma_f64 v[120:121], v[6:7], s[4:5], -v[120:121]
	v_fma_f64 v[124:125], v[4:5], s[24:25], -v[82:83]
	v_fma_f64 v[126:127], s[24:25], v[6:7], v[80:81]
	v_fmac_f64_e32 v[82:83], s[24:25], v[4:5]
	v_fma_f64 v[4:5], v[6:7], s[24:25], -v[80:81]
	v_add_f64 v[6:7], v[74:75], v[78:79]
	v_add_f64 v[74:75], v[74:75], -v[78:79]
	v_add_f64 v[0:1], v[4:5], v[0:1]
	v_add_f64 v[4:5], v[72:73], v[76:77]
	v_add_f64 v[72:73], v[72:73], -v[76:77]
	v_mul_f64 v[76:77], v[74:75], s[22:23]
	v_fma_f64 v[78:79], v[4:5], s[20:21], -v[76:77]
	v_mul_f64 v[80:81], v[72:73], s[22:23]
	v_fmac_f64_e32 v[76:77], s[20:21], v[4:5]
	v_add_f64 v[2:3], v[82:83], v[2:3]
	v_fma_f64 v[82:83], s[20:21], v[6:7], v[80:81]
	v_add_f64 v[76:77], v[76:77], v[84:85]
	v_fma_f64 v[80:81], v[6:7], s[20:21], -v[80:81]
	v_mul_f64 v[84:85], v[74:75], s[40:41]
	v_add_f64 v[78:79], v[78:79], v[86:87]
	v_add_f64 v[80:81], v[80:81], v[88:89]
	v_fma_f64 v[86:87], v[4:5], s[24:25], -v[84:85]
	v_mul_f64 v[88:89], v[72:73], s[40:41]
	v_fmac_f64_e32 v[84:85], s[24:25], v[4:5]
	v_add_f64 v[82:83], v[82:83], v[90:91]
	v_fma_f64 v[90:91], s[24:25], v[6:7], v[88:89]
	v_add_f64 v[84:85], v[84:85], v[92:93]
	v_fma_f64 v[88:89], v[6:7], s[24:25], -v[88:89]
	v_mul_f64 v[92:93], v[74:75], s[18:19]
	v_add_f64 v[86:87], v[86:87], v[94:95]
	v_add_f64 v[88:89], v[88:89], v[96:97]
	;; [unrolled: 10-line block ×3, first 2 shown]
	v_fma_f64 v[102:103], v[4:5], s[0:1], -v[100:101]
	v_mul_f64 v[104:105], v[72:73], s[38:39]
	v_fmac_f64_e32 v[100:101], s[0:1], v[4:5]
	s_mov_b32 s41, 0x3fcea1e5
	s_mov_b32 s40, s36
	v_add_f64 v[98:99], v[98:99], v[106:107]
	v_fma_f64 v[106:107], s[0:1], v[6:7], v[104:105]
	v_add_f64 v[100:101], v[100:101], v[108:109]
	v_fma_f64 v[104:105], v[6:7], s[0:1], -v[104:105]
	v_mul_f64 v[108:109], v[74:75], s[40:41]
	s_mov_b32 s39, 0x3fea55e2
	s_mov_b32 s38, s28
	v_add_f64 v[102:103], v[102:103], v[110:111]
	v_add_f64 v[104:105], v[104:105], v[112:113]
	v_fma_f64 v[110:111], v[4:5], s[34:35], -v[108:109]
	v_mul_f64 v[112:113], v[72:73], s[40:41]
	v_fmac_f64_e32 v[108:109], s[34:35], v[4:5]
	v_mul_f64 v[74:75], v[74:75], s[38:39]
	v_mul_f64 v[72:73], v[72:73], s[38:39]
	v_add_f64 v[106:107], v[106:107], v[114:115]
	v_add_f64 v[110:111], v[110:111], v[118:119]
	v_fma_f64 v[114:115], s[34:35], v[6:7], v[112:113]
	v_add_f64 v[108:109], v[108:109], v[116:117]
	v_fma_f64 v[112:113], v[6:7], s[34:35], -v[112:113]
	v_fma_f64 v[116:117], v[4:5], s[4:5], -v[74:75]
	v_fma_f64 v[118:119], s[4:5], v[6:7], v[72:73]
	v_fmac_f64_e32 v[74:75], s[4:5], v[4:5]
	v_fma_f64 v[4:5], v[6:7], s[4:5], -v[72:73]
	v_add_f64 v[6:7], v[66:67], v[70:71]
	v_add_f64 v[66:67], v[66:67], -v[70:71]
	v_add_f64 v[0:1], v[4:5], v[0:1]
	v_add_f64 v[4:5], v[64:65], v[68:69]
	v_add_f64 v[64:65], v[64:65], -v[68:69]
	v_mul_f64 v[68:69], v[66:67], s[26:27]
	v_fma_f64 v[70:71], v[4:5], s[24:25], -v[68:69]
	v_fmac_f64_e32 v[68:69], s[24:25], v[4:5]
	v_mul_f64 v[72:73], v[64:65], s[26:27]
	v_add_f64 v[68:69], v[68:69], v[76:77]
	v_mul_f64 v[76:77], v[66:67], s[30:31]
	v_add_f64 v[2:3], v[74:75], v[2:3]
	v_add_f64 v[70:71], v[70:71], v[78:79]
	v_fma_f64 v[74:75], s[24:25], v[6:7], v[72:73]
	v_fma_f64 v[72:73], v[6:7], s[24:25], -v[72:73]
	v_fma_f64 v[78:79], v[4:5], s[0:1], -v[76:77]
	v_fmac_f64_e32 v[76:77], s[0:1], v[4:5]
	v_add_f64 v[72:73], v[72:73], v[80:81]
	v_mul_f64 v[80:81], v[64:65], s[30:31]
	v_add_f64 v[76:77], v[76:77], v[84:85]
	v_mul_f64 v[84:85], v[66:67], s[28:29]
	v_add_f64 v[74:75], v[74:75], v[82:83]
	v_add_f64 v[78:79], v[78:79], v[86:87]
	v_fma_f64 v[82:83], s[0:1], v[6:7], v[80:81]
	v_fma_f64 v[80:81], v[6:7], s[0:1], -v[80:81]
	v_fma_f64 v[86:87], v[4:5], s[4:5], -v[84:85]
	v_fmac_f64_e32 v[84:85], s[4:5], v[4:5]
	v_add_f64 v[80:81], v[80:81], v[88:89]
	;; [unrolled: 10-line block ×3, first 2 shown]
	v_mul_f64 v[96:97], v[64:65], s[40:41]
	v_add_f64 v[92:93], v[92:93], v[100:101]
	v_mul_f64 v[100:101], v[66:67], s[18:19]
	v_add_f64 v[128:129], v[128:129], v[136:137]
	v_add_f64 v[90:91], v[90:91], v[98:99]
	;; [unrolled: 1-line block ×3, first 2 shown]
	v_fma_f64 v[98:99], s[34:35], v[6:7], v[96:97]
	v_fma_f64 v[96:97], v[6:7], s[34:35], -v[96:97]
	v_fma_f64 v[102:103], v[4:5], s[16:17], -v[100:101]
	v_add_f64 v[132:133], v[132:133], v[140:141]
	v_add_f64 v[120:121], v[120:121], v[128:129]
	;; [unrolled: 1-line block ×4, first 2 shown]
	v_mul_f64 v[102:103], v[64:65], s[18:19]
	v_fmac_f64_e32 v[100:101], s[16:17], v[4:5]
	v_add_f64 v[130:131], v[130:131], v[138:139]
	v_add_f64 v[134:135], v[134:135], v[142:143]
	;; [unrolled: 1-line block ×5, first 2 shown]
	v_fma_f64 v[100:101], v[6:7], s[16:17], -v[102:103]
	v_mul_f64 v[66:67], v[66:67], s[22:23]
	v_add_f64 v[122:123], v[122:123], v[130:131]
	v_add_f64 v[126:127], v[126:127], v[134:135]
	;; [unrolled: 1-line block ×4, first 2 shown]
	v_fma_f64 v[100:101], v[4:5], s[20:21], -v[66:67]
	v_mul_f64 v[64:65], v[64:65], s[22:23]
	v_add_f64 v[114:115], v[114:115], v[122:123]
	v_add_f64 v[118:119], v[118:119], v[126:127]
	;; [unrolled: 1-line block ×3, first 2 shown]
	v_fma_f64 v[106:107], s[16:17], v[6:7], v[102:103]
	v_add_f64 v[112:113], v[100:101], v[116:117]
	v_fma_f64 v[100:101], s[20:21], v[6:7], v[64:65]
	v_add_f64 v[106:107], v[106:107], v[114:115]
	v_add_f64 v[114:115], v[100:101], v[118:119]
	v_fmac_f64_e32 v[66:67], s[20:21], v[4:5]
	v_fma_f64 v[4:5], v[6:7], s[20:21], -v[64:65]
	v_add_f64 v[118:119], v[58:59], -v[62:63]
	v_add_f64 v[0:1], v[4:5], v[0:1]
	v_add_f64 v[4:5], v[56:57], v[60:61]
	v_add_f64 v[116:117], v[56:57], -v[60:61]
	v_mul_f64 v[60:61], v[118:119], s[36:37]
	v_add_f64 v[2:3], v[66:67], v[2:3]
	v_add_f64 v[6:7], v[58:59], v[62:63]
	v_fma_f64 v[56:57], v[4:5], s[34:35], -v[60:61]
	v_mul_f64 v[62:63], v[116:117], s[36:37]
	v_fmac_f64_e32 v[60:61], s[34:35], v[4:5]
	v_mul_f64 v[66:67], v[116:117], s[18:19]
	v_fma_f64 v[58:59], s[34:35], v[6:7], v[62:63]
	v_add_f64 v[100:101], v[60:61], v[68:69]
	v_fma_f64 v[60:61], v[6:7], s[34:35], -v[62:63]
	v_mul_f64 v[64:65], v[118:119], s[18:19]
	v_fma_f64 v[62:63], s[16:17], v[6:7], v[66:67]
	v_add_f64 v[102:103], v[60:61], v[72:73]
	v_fma_f64 v[60:61], v[4:5], s[16:17], -v[64:65]
	v_add_f64 v[62:63], v[62:63], v[82:83]
	v_fma_f64 v[66:67], v[6:7], s[16:17], -v[66:67]
	v_mul_f64 v[82:83], v[116:117], s[38:39]
	v_add_f64 v[60:61], v[60:61], v[78:79]
	v_fmac_f64_e32 v[64:65], s[16:17], v[4:5]
	v_add_f64 v[66:67], v[66:67], v[80:81]
	v_mul_f64 v[80:81], v[118:119], s[38:39]
	v_fma_f64 v[78:79], s[4:5], v[6:7], v[82:83]
	v_fma_f64 v[82:83], v[6:7], s[4:5], -v[82:83]
	v_add_f64 v[64:65], v[64:65], v[76:77]
	v_fma_f64 v[76:77], v[4:5], s[4:5], -v[80:81]
	v_fmac_f64_e32 v[80:81], s[4:5], v[4:5]
	v_add_f64 v[82:83], v[82:83], v[96:97]
	v_mul_f64 v[96:97], v[118:119], s[30:31]
	v_add_f64 v[58:59], v[58:59], v[74:75]
	v_mul_f64 v[74:75], v[116:117], s[26:27]
	v_add_f64 v[78:79], v[78:79], v[98:99]
	v_add_f64 v[80:81], v[80:81], v[92:93]
	v_fma_f64 v[92:93], v[4:5], s[0:1], -v[96:97]
	v_mul_f64 v[98:99], v[116:117], s[30:31]
	v_fmac_f64_e32 v[96:97], s[0:1], v[4:5]
	v_add_f64 v[56:57], v[56:57], v[70:71]
	v_mul_f64 v[72:73], v[118:119], s[26:27]
	v_fma_f64 v[70:71], s[24:25], v[6:7], v[74:75]
	v_fma_f64 v[74:75], v[6:7], s[24:25], -v[74:75]
	v_add_f64 v[96:97], v[96:97], v[2:3]
	v_fma_f64 v[2:3], v[6:7], s[0:1], -v[98:99]
	v_fma_f64 v[68:69], v[4:5], s[24:25], -v[72:73]
	v_add_f64 v[70:71], v[70:71], v[90:91]
	v_fmac_f64_e32 v[72:73], s[24:25], v[4:5]
	v_add_f64 v[74:75], v[74:75], v[88:89]
	v_add_f64 v[76:77], v[76:77], v[94:95]
	v_mul_f64 v[88:89], v[118:119], s[22:23]
	v_mul_f64 v[90:91], v[116:117], s[22:23]
	v_fma_f64 v[94:95], s[0:1], v[6:7], v[98:99]
	v_add_f64 v[98:99], v[2:3], v[0:1]
	v_mul_lo_u16_e32 v0, 13, v14
	v_add_f64 v[68:69], v[68:69], v[86:87]
	v_add_f64 v[72:73], v[72:73], v[84:85]
	v_fma_f64 v[84:85], v[4:5], s[20:21], -v[88:89]
	v_fma_f64 v[86:87], s[20:21], v[6:7], v[90:91]
	v_fmac_f64_e32 v[88:89], s[20:21], v[4:5]
	v_fma_f64 v[90:91], v[6:7], s[20:21], -v[90:91]
	v_lshlrev_b32_e32 v0, 4, v0
	v_add_f64 v[84:85], v[84:85], v[104:105]
	v_add_f64 v[86:87], v[86:87], v[106:107]
	;; [unrolled: 1-line block ×6, first 2 shown]
	s_barrier
	ds_write_b128 v0, v[52:55]
	ds_write_b128 v0, v[56:59] offset:16
	ds_write_b128 v0, v[60:63] offset:32
	;; [unrolled: 1-line block ×12, first 2 shown]
	s_waitcnt lgkmcnt(0)
	s_barrier
	ds_read_b128 v[112:115], v253
	ds_read_b128 v[108:111], v253 offset:2496
	ds_read_b128 v[144:147], v253 offset:16224
	;; [unrolled: 1-line block ×11, first 2 shown]
	v_accvgpr_write_b32 a12, v20
	v_accvgpr_write_b32 a4, v10
	;; [unrolled: 1-line block ×32, first 2 shown]
	v_cmp_gt_u16_e64 s[0:1], 39, v14
                                        ; implicit-def: $vgpr140_vgpr141
                                        ; implicit-def: $vgpr132_vgpr133
                                        ; implicit-def: $vgpr116_vgpr117
	s_and_saveexec_b64 s[4:5], s[0:1]
	s_cbranch_execz .LBB0_3
; %bb.2:
	ds_read_b128 v[100:103], v253 offset:7488
	ds_read_b128 v[116:119], v253 offset:15600
	ds_read_b128 v[132:135], v253 offset:23712
	ds_read_b128 v[140:143], v253 offset:31824
.LBB0_3:
	s_or_b64 exec, exec, s[4:5]
	s_movk_i32 s4, 0x4f
	v_mul_lo_u16_sdwa v2, v14, s4 dst_sel:DWORD dst_unused:UNUSED_PAD src0_sel:BYTE_0 src1_sel:DWORD
	v_lshrrev_b16_e32 v8, 10, v2
	v_mul_lo_u16_e32 v2, 13, v8
	v_sub_u16_e32 v2, v14, v2
	v_and_b32_e32 v9, 0xff, v2
	v_mad_u64_u32 v[2:3], s[4:5], v9, 48, s[14:15]
	v_add_co_u32_e32 v1, vcc, 0x9c, v14
	s_movk_i32 s4, 0x4ec5
	global_load_dwordx4 v[52:55], v[2:3], off offset:32
	global_load_dwordx4 v[56:59], v[2:3], off offset:16
	global_load_dwordx4 v[60:63], v[2:3], off
	v_mul_u32_u24_sdwa v2, v1, s4 dst_sel:DWORD dst_unused:UNUSED_PAD src0_sel:WORD_0 src1_sel:DWORD
	v_lshrrev_b32_e32 v10, 18, v2
	v_mul_lo_u16_e32 v2, 13, v10
	v_sub_u16_e32 v11, v1, v2
	v_mul_lo_u16_e32 v2, 48, v11
	v_mov_b32_e32 v4, s15
	v_add_co_u32_e32 v2, vcc, s14, v2
	s_movk_i32 s5, 0x138
	v_addc_co_u32_e32 v3, vcc, 0, v4, vcc
	v_add_co_u32_e32 v204, vcc, s5, v14
	global_load_dwordx4 v[72:75], v[2:3], off
	global_load_dwordx4 v[68:71], v[2:3], off offset:16
	global_load_dwordx4 v[64:67], v[2:3], off offset:32
	v_mul_u32_u24_sdwa v2, v204, s4 dst_sel:DWORD dst_unused:UNUSED_PAD src0_sel:WORD_0 src1_sel:DWORD
	v_lshrrev_b32_e32 v12, 18, v2
	v_mul_lo_u16_e32 v2, 13, v12
	v_sub_u16_e32 v13, v204, v2
	v_mul_lo_u16_e32 v2, 48, v13
	v_add_co_u32_e32 v2, vcc, s14, v2
	v_addc_co_u32_e32 v3, vcc, 0, v4, vcc
	v_add_u16_e32 v205, 0x1d4, v14
	global_load_dwordx4 v[76:79], v[2:3], off offset:16
	global_load_dwordx4 v[84:87], v[2:3], off
	global_load_dwordx4 v[80:83], v[2:3], off offset:32
	v_mul_u32_u24_e32 v2, 0x4ec5, v205
	v_lshrrev_b32_e32 v2, 18, v2
	v_accvgpr_write_b32 a1, v2
	v_mul_lo_u16_e32 v2, 13, v2
	v_sub_u16_e32 v2, v205, v2
	v_accvgpr_write_b32 a3, v2
	v_mul_lo_u16_e32 v2, 48, v2
	v_add_co_u32_e32 v2, vcc, s14, v2
	v_addc_co_u32_e32 v3, vcc, 0, v4, vcc
	global_load_dwordx4 v[96:99], v[2:3], off
	global_load_dwordx4 v[92:95], v[2:3], off offset:16
	global_load_dwordx4 v[88:91], v[2:3], off offset:32
	s_waitcnt lgkmcnt(0)
	s_barrier
	s_waitcnt vmcnt(11)
	v_mul_f64 v[166:167], v[162:163], v[54:55]
	s_waitcnt vmcnt(10)
	v_mul_f64 v[164:165], v[144:145], v[58:59]
	v_mul_f64 v[6:7], v[146:147], v[58:59]
	v_fmac_f64_e32 v[164:165], v[146:147], v[56:57]
	s_waitcnt vmcnt(9)
	v_mul_f64 v[2:3], v[158:159], v[62:63]
	v_mul_f64 v[4:5], v[156:157], v[62:63]
	;; [unrolled: 1-line block ×3, first 2 shown]
	v_fma_f64 v[2:3], v[156:157], v[60:61], -v[2:3]
	v_fmac_f64_e32 v[4:5], v[158:159], v[60:61]
	v_fma_f64 v[6:7], v[144:145], v[56:57], -v[6:7]
	v_fma_f64 v[144:145], v[160:161], v[52:53], -v[166:167]
	v_fmac_f64_e32 v[168:169], v[162:163], v[52:53]
	v_add_f64 v[6:7], v[112:113], -v[6:7]
	s_waitcnt vmcnt(8)
	v_mul_f64 v[170:171], v[150:151], v[74:75]
	v_mul_f64 v[172:173], v[148:149], v[74:75]
	v_fma_f64 v[146:147], v[148:149], v[72:73], -v[170:171]
	s_waitcnt vmcnt(6)
	v_mul_f64 v[180:181], v[152:153], v[66:67]
	v_fmac_f64_e32 v[172:173], v[150:151], v[72:73]
	v_mul_f64 v[176:177], v[136:137], v[70:71]
	v_mul_f64 v[178:179], v[154:155], v[66:67]
	v_fmac_f64_e32 v[180:181], v[154:155], v[64:65]
	v_mul_f64 v[174:175], v[138:139], v[70:71]
	v_fmac_f64_e32 v[176:177], v[138:139], v[68:69]
	v_fma_f64 v[138:139], v[152:153], v[64:65], -v[178:179]
	s_waitcnt vmcnt(5)
	v_mul_f64 v[154:155], v[124:125], v[78:79]
	s_waitcnt vmcnt(4)
	v_mul_f64 v[148:149], v[122:123], v[86:87]
	v_mul_f64 v[150:151], v[120:121], v[86:87]
	v_fma_f64 v[148:149], v[120:121], v[84:85], -v[148:149]
	v_mul_f64 v[152:153], v[126:127], v[78:79]
	v_fmac_f64_e32 v[150:151], v[122:123], v[84:85]
	v_fmac_f64_e32 v[154:155], v[126:127], v[76:77]
	v_add_f64 v[126:127], v[114:115], -v[164:165]
	v_add_f64 v[122:123], v[2:3], -v[144:145]
	v_fma_f64 v[136:137], v[136:137], v[68:69], -v[174:175]
	v_fma_f64 v[2:3], v[2:3], 2.0, -v[122:123]
	s_waitcnt vmcnt(3)
	v_mul_f64 v[156:157], v[130:131], v[82:83]
	s_waitcnt vmcnt(2)
	v_mul_f64 v[120:121], v[118:119], v[98:99]
	v_fma_f64 v[160:161], v[116:117], v[96:97], -v[120:121]
	v_mul_f64 v[162:163], v[116:117], v[98:99]
	s_waitcnt vmcnt(1)
	v_mul_f64 v[116:117], v[134:135], v[94:95]
	v_fma_f64 v[166:167], v[132:133], v[92:93], -v[116:117]
	v_mul_f64 v[132:133], v[132:133], v[94:95]
	s_waitcnt vmcnt(0)
	v_mul_f64 v[116:117], v[142:143], v[90:91]
	v_add_f64 v[120:121], v[4:5], -v[168:169]
	v_fmac_f64_e32 v[162:163], v[118:119], v[96:97]
	v_fmac_f64_e32 v[132:133], v[134:135], v[92:93]
	v_fma_f64 v[134:135], v[140:141], v[88:89], -v[116:117]
	v_fma_f64 v[116:117], v[112:113], 2.0, -v[6:7]
	v_fma_f64 v[118:119], v[114:115], 2.0, -v[126:127]
	;; [unrolled: 1-line block ×3, first 2 shown]
	v_mul_f64 v[158:159], v[128:129], v[82:83]
	v_add_f64 v[112:113], v[116:117], -v[2:3]
	v_add_f64 v[114:115], v[118:119], -v[4:5]
	;; [unrolled: 1-line block ×7, first 2 shown]
	v_fma_f64 v[152:153], v[124:125], v[76:77], -v[152:153]
	v_fma_f64 v[156:157], v[128:129], v[80:81], -v[156:157]
	v_fmac_f64_e32 v[158:159], v[130:131], v[80:81]
	v_mul_f64 v[170:171], v[140:141], v[90:91]
	v_fma_f64 v[124:125], v[6:7], 2.0, -v[120:121]
	v_fma_f64 v[6:7], v[108:109], 2.0, -v[2:3]
	v_fma_f64 v[130:131], v[110:111], 2.0, -v[4:5]
	v_fma_f64 v[108:109], v[146:147], 2.0, -v[138:139]
	v_fma_f64 v[110:111], v[172:173], 2.0, -v[136:137]
	v_add_f64 v[136:137], v[2:3], -v[136:137]
	v_add_f64 v[138:139], v[4:5], v[138:139]
	v_fmac_f64_e32 v[170:171], v[142:143], v[88:89]
	v_fma_f64 v[140:141], v[2:3], 2.0, -v[136:137]
	v_fma_f64 v[142:143], v[4:5], 2.0, -v[138:139]
	v_add_f64 v[2:3], v[104:105], -v[152:153]
	v_add_f64 v[4:5], v[106:107], -v[154:155]
	v_add_f64 v[146:147], v[148:149], -v[156:157]
	v_add_f64 v[152:153], v[150:151], -v[158:159]
	v_add_f64 v[108:109], v[6:7], -v[108:109]
	v_fma_f64 v[144:145], v[106:107], 2.0, -v[4:5]
	v_fma_f64 v[106:107], v[150:151], 2.0, -v[152:153]
	v_add_f64 v[152:153], v[2:3], -v[152:153]
	v_add_f64 v[154:155], v[4:5], v[146:147]
	v_fma_f64 v[128:129], v[6:7], 2.0, -v[108:109]
	v_fma_f64 v[6:7], v[104:105], 2.0, -v[2:3]
	;; [unrolled: 1-line block ×3, first 2 shown]
	v_add_f64 v[106:107], v[144:145], -v[106:107]
	v_fma_f64 v[156:157], v[2:3], 2.0, -v[152:153]
	v_fma_f64 v[158:159], v[4:5], 2.0, -v[154:155]
	v_add_f64 v[2:3], v[100:101], -v[166:167]
	v_add_f64 v[4:5], v[102:103], -v[132:133]
	v_add_f64 v[132:133], v[162:163], -v[170:171]
	v_add_f64 v[104:105], v[6:7], -v[104:105]
	v_fma_f64 v[150:151], v[144:145], 2.0, -v[106:107]
	v_fma_f64 v[144:145], v[162:163], 2.0, -v[132:133]
	v_add_f64 v[132:133], v[2:3], -v[132:133]
	v_fma_f64 v[148:149], v[6:7], 2.0, -v[104:105]
	v_fma_f64 v[6:7], v[100:101], 2.0, -v[2:3]
	v_fma_f64 v[168:169], v[2:3], 2.0, -v[132:133]
	v_mul_u32_u24_e32 v2, 52, v8
	v_fma_f64 v[116:117], v[116:117], 2.0, -v[112:113]
	v_fma_f64 v[118:119], v[118:119], 2.0, -v[114:115]
	v_add_f64 v[122:123], v[126:127], v[122:123]
	v_add_lshl_u32 v2, v2, v9, 4
	v_fma_f64 v[126:127], v[126:127], 2.0, -v[122:123]
	v_add_f64 v[110:111], v[130:131], -v[110:111]
	ds_write_b128 v2, v[116:119]
	ds_write_b128 v2, v[124:127] offset:208
	ds_write_b128 v2, v[112:115] offset:416
	v_accvgpr_write_b32 a52, v2
	ds_write_b128 v2, v[120:123] offset:624
	v_mad_legacy_u16 v2, v10, 52, v11
	v_fma_f64 v[130:131], v[130:131], 2.0, -v[110:111]
	v_fma_f64 v[100:101], v[102:103], 2.0, -v[4:5]
	v_add_f64 v[102:103], v[160:161], -v[134:135]
	v_lshlrev_b32_e32 v2, 4, v2
	v_fma_f64 v[134:135], v[160:161], 2.0, -v[102:103]
	ds_write_b128 v2, v[128:131]
	ds_write_b128 v2, v[140:143] offset:208
	ds_write_b128 v2, v[108:111] offset:416
	v_accvgpr_write_b32 a53, v2
	ds_write_b128 v2, v[136:139] offset:624
	v_mad_legacy_u16 v2, v12, 52, v13
	v_add_f64 v[164:165], v[6:7], -v[134:135]
	v_add_f64 v[166:167], v[100:101], -v[144:145]
	v_add_f64 v[134:135], v[4:5], v[102:103]
	v_lshlrev_b32_e32 v2, 4, v2
	v_fma_f64 v[144:145], v[6:7], 2.0, -v[164:165]
	v_fma_f64 v[146:147], v[100:101], 2.0, -v[166:167]
	;; [unrolled: 1-line block ×3, first 2 shown]
	v_accvgpr_write_b32 a54, v2
	ds_write_b128 v2, v[148:151]
	ds_write_b128 v2, v[156:159] offset:208
	ds_write_b128 v2, v[104:107] offset:416
	;; [unrolled: 1-line block ×3, first 2 shown]
	s_and_saveexec_b64 s[4:5], s[0:1]
	s_cbranch_execz .LBB0_5
; %bb.4:
	v_accvgpr_read_b32 v2, a1
	v_accvgpr_read_b32 v3, a3
	v_mad_legacy_u16 v2, v2, 52, v3
	v_lshlrev_b32_e32 v2, 4, v2
	ds_write_b128 v2, v[144:147]
	ds_write_b128 v2, v[168:171] offset:208
	ds_write_b128 v2, v[164:167] offset:416
	;; [unrolled: 1-line block ×3, first 2 shown]
.LBB0_5:
	s_or_b64 exec, exec, s[4:5]
	s_waitcnt lgkmcnt(0)
	s_barrier
	ds_read_b128 v[160:163], v253
	ds_read_b128 v[156:159], v253 offset:2496
	ds_read_b128 v[196:199], v253 offset:10816
	;; [unrolled: 1-line block ×11, first 2 shown]
	v_cmp_gt_u16_e32 vcc, 52, v14
	s_and_saveexec_b64 s[4:5], vcc
	s_cbranch_execz .LBB0_7
; %bb.6:
	ds_read_b128 v[144:147], v253 offset:9984
	ds_read_b128 v[168:171], v253 offset:20800
	;; [unrolled: 1-line block ×3, first 2 shown]
.LBB0_7:
	s_or_b64 exec, exec, s[4:5]
	s_movk_i32 s4, 0x4f
	v_mul_lo_u16_sdwa v2, v14, s4 dst_sel:DWORD dst_unused:UNUSED_PAD src0_sel:BYTE_0 src1_sel:DWORD
	v_lshrrev_b16_e32 v6, 12, v2
	v_mul_lo_u16_e32 v2, 52, v6
	v_sub_u16_e32 v2, v14, v2
	v_and_b32_e32 v7, 0xff, v2
	v_lshlrev_b32_e32 v2, 5, v7
	s_movk_i32 s12, 0x4ec5
	global_load_dwordx4 v[108:111], v2, s[14:15] offset:640
	global_load_dwordx4 v[112:115], v2, s[14:15] offset:624
	v_mul_u32_u24_sdwa v2, v1, s12 dst_sel:DWORD dst_unused:UNUSED_PAD src0_sel:WORD_0 src1_sel:DWORD
	v_lshrrev_b32_e32 v8, 20, v2
	v_mul_lo_u16_e32 v2, 52, v8
	v_sub_u16_e32 v1, v1, v2
	v_lshlrev_b16_e32 v2, 5, v1
	v_add_co_u32_e64 v2, s[4:5], s14, v2
	v_mov_b32_e32 v5, s15
	v_addc_co_u32_e64 v3, s[4:5], 0, v5, s[4:5]
	global_load_dwordx4 v[116:119], v[2:3], off offset:640
	global_load_dwordx4 v[120:123], v[2:3], off offset:624
	v_mul_u32_u24_sdwa v2, v204, s12 dst_sel:DWORD dst_unused:UNUSED_PAD src0_sel:WORD_0 src1_sel:DWORD
	v_lshrrev_b32_e32 v9, 20, v2
	v_mul_u32_u24_e32 v2, 0x4ec5, v205
	v_lshrrev_b32_e32 v10, 20, v2
	v_mul_lo_u16_e32 v2, 52, v10
	v_sub_u16_e32 v11, v205, v2
	v_lshlrev_b16_e32 v2, 5, v11
	v_add_co_u32_e64 v2, s[4:5], s14, v2
	v_mul_lo_u16_e32 v12, 52, v9
	v_addc_co_u32_e64 v3, s[4:5], 0, v5, s[4:5]
	v_sub_u16_e32 v12, v204, v12
	global_load_dwordx4 v[128:131], v[2:3], off offset:624
	global_load_dwordx4 v[124:127], v[2:3], off offset:640
	v_lshlrev_b16_e32 v2, 5, v12
	v_add_co_u32_e64 v2, s[4:5], s14, v2
	v_add_u32_e32 v4, 0x270, v14
	v_addc_co_u32_e64 v3, s[4:5], 0, v5, s[4:5]
	global_load_dwordx4 v[136:139], v[2:3], off offset:640
	global_load_dwordx4 v[140:143], v[2:3], off offset:624
	v_mul_u32_u24_sdwa v2, v4, s12 dst_sel:DWORD dst_unused:UNUSED_PAD src0_sel:WORD_0 src1_sel:DWORD
	v_lshrrev_b32_e32 v2, 20, v2
	v_mul_lo_u16_e32 v2, 52, v2
	v_sub_u16_e32 v13, v4, v2
	v_lshlrev_b16_e32 v2, 5, v13
	v_add_co_u32_e64 v2, s[4:5], s14, v2
	v_addc_co_u32_e64 v3, s[4:5], 0, v5, s[4:5]
	global_load_dwordx4 v[104:107], v[2:3], off offset:624
	global_load_dwordx4 v[100:103], v[2:3], off offset:640
	s_mov_b32 s4, 0xe8584caa
	s_mov_b32 s5, 0x3febb67a
	;; [unrolled: 1-line block ×4, first 2 shown]
	s_waitcnt lgkmcnt(0)
	s_barrier
	s_waitcnt vmcnt(9)
	v_mul_f64 v[204:205], v[202:203], v[110:111]
	s_waitcnt vmcnt(8)
	v_mul_f64 v[2:3], v[198:199], v[114:115]
	v_mul_f64 v[4:5], v[196:197], v[114:115]
	;; [unrolled: 1-line block ×3, first 2 shown]
	v_fma_f64 v[2:3], v[196:197], v[112:113], -v[2:3]
	v_fmac_f64_e32 v[4:5], v[198:199], v[112:113]
	v_fma_f64 v[196:197], v[200:201], v[108:109], -v[204:205]
	v_fmac_f64_e32 v[206:207], v[202:203], v[108:109]
	s_waitcnt vmcnt(7)
	v_mul_f64 v[202:203], v[178:179], v[118:119]
	s_waitcnt vmcnt(6)
	v_mul_f64 v[198:199], v[174:175], v[122:123]
	v_mul_f64 v[200:201], v[172:173], v[122:123]
	v_fmac_f64_e32 v[200:201], v[174:175], v[120:121]
	v_mul_f64 v[204:205], v[176:177], v[118:119]
	v_fmac_f64_e32 v[204:205], v[178:179], v[116:117]
	s_waitcnt vmcnt(5)
	v_mul_f64 v[208:209], v[190:191], v[130:131]
	v_mul_f64 v[214:215], v[188:189], v[130:131]
	v_fma_f64 v[224:225], v[188:189], v[128:129], -v[208:209]
	v_fmac_f64_e32 v[214:215], v[190:191], v[128:129]
	v_fma_f64 v[190:191], v[172:173], v[120:121], -v[198:199]
	s_waitcnt vmcnt(4)
	v_mul_f64 v[216:217], v[192:193], v[126:127]
	v_mul_f64 v[210:211], v[194:195], v[126:127]
	v_fmac_f64_e32 v[216:217], v[194:195], v[124:125]
	v_fma_f64 v[194:195], v[176:177], v[116:117], -v[202:203]
	s_waitcnt vmcnt(2)
	v_mul_f64 v[212:213], v[182:183], v[142:143]
	v_mul_f64 v[218:219], v[180:181], v[142:143]
	v_fma_f64 v[198:199], v[180:181], v[140:141], -v[212:213]
	v_mul_f64 v[220:221], v[186:187], v[138:139]
	v_fmac_f64_e32 v[218:219], v[182:183], v[140:141]
	v_mul_f64 v[222:223], v[184:185], v[138:139]
	v_fma_f64 v[208:209], v[184:185], v[136:137], -v[220:221]
	v_fmac_f64_e32 v[222:223], v[186:187], v[136:137]
	s_waitcnt vmcnt(1)
	v_mul_f64 v[188:189], v[170:171], v[106:107]
	v_fma_f64 v[172:173], v[168:169], v[104:105], -v[188:189]
	v_mul_f64 v[174:175], v[168:169], v[106:107]
	s_waitcnt vmcnt(0)
	v_mul_f64 v[168:169], v[166:167], v[102:103]
	v_fma_f64 v[168:169], v[164:165], v[100:101], -v[168:169]
	v_mul_f64 v[164:165], v[164:165], v[102:103]
	v_fmac_f64_e32 v[164:165], v[166:167], v[100:101]
	v_add_f64 v[166:167], v[160:161], v[2:3]
	v_add_f64 v[176:177], v[166:167], v[196:197]
	;; [unrolled: 1-line block ×3, first 2 shown]
	v_fmac_f64_e32 v[160:161], -0.5, v[166:167]
	v_add_f64 v[166:167], v[4:5], -v[206:207]
	v_fma_f64 v[180:181], s[4:5], v[166:167], v[160:161]
	v_fmac_f64_e32 v[160:161], s[16:17], v[166:167]
	v_add_f64 v[166:167], v[162:163], v[4:5]
	v_add_f64 v[4:5], v[4:5], v[206:207]
	v_fmac_f64_e32 v[162:163], -0.5, v[4:5]
	v_add_f64 v[2:3], v[2:3], -v[196:197]
	v_fma_f64 v[182:183], s[16:17], v[2:3], v[162:163]
	v_fmac_f64_e32 v[162:163], s[4:5], v[2:3]
	v_add_f64 v[2:3], v[156:157], v[190:191]
	v_add_f64 v[184:185], v[2:3], v[194:195]
	v_add_f64 v[2:3], v[190:191], v[194:195]
	v_fmac_f64_e32 v[156:157], -0.5, v[2:3]
	v_add_f64 v[2:3], v[200:201], -v[204:205]
	v_fma_f64 v[188:189], s[4:5], v[2:3], v[156:157]
	v_fmac_f64_e32 v[156:157], s[16:17], v[2:3]
	v_add_f64 v[2:3], v[158:159], v[200:201]
	;; [unrolled: 7-line block ×4, first 2 shown]
	v_add_f64 v[202:203], v[2:3], v[222:223]
	v_add_f64 v[2:3], v[218:219], v[222:223]
	v_fmac_f64_e32 v[154:155], -0.5, v[2:3]
	v_add_f64 v[2:3], v[198:199], -v[208:209]
	v_fma_f64 v[192:193], v[192:193], v[124:125], -v[210:211]
	v_add_f64 v[178:179], v[166:167], v[206:207]
	v_fma_f64 v[206:207], s[16:17], v[2:3], v[154:155]
	v_fmac_f64_e32 v[154:155], s[4:5], v[2:3]
	v_add_f64 v[2:3], v[148:149], v[224:225]
	v_add_f64 v[208:209], v[2:3], v[192:193]
	;; [unrolled: 1-line block ×3, first 2 shown]
	v_fmac_f64_e32 v[148:149], -0.5, v[2:3]
	v_add_f64 v[2:3], v[214:215], -v[216:217]
	v_fma_f64 v[212:213], s[4:5], v[2:3], v[148:149]
	v_fmac_f64_e32 v[148:149], s[16:17], v[2:3]
	v_add_f64 v[2:3], v[150:151], v[214:215]
	v_add_f64 v[210:211], v[2:3], v[216:217]
	;; [unrolled: 1-line block ×3, first 2 shown]
	v_fmac_f64_e32 v[150:151], -0.5, v[2:3]
	v_add_f64 v[2:3], v[224:225], -v[192:193]
	v_fmac_f64_e32 v[174:175], v[170:171], v[104:105]
	v_fma_f64 v[214:215], s[16:17], v[2:3], v[150:151]
	v_fmac_f64_e32 v[150:151], s[4:5], v[2:3]
	v_add_f64 v[2:3], v[172:173], v[168:169]
	v_fma_f64 v[196:197], -0.5, v[2:3], v[144:145]
	v_add_f64 v[2:3], v[174:175], -v[164:165]
	v_fma_f64 v[192:193], s[4:5], v[2:3], v[196:197]
	v_fmac_f64_e32 v[196:197], s[16:17], v[2:3]
	v_add_f64 v[2:3], v[174:175], v[164:165]
	v_fma_f64 v[198:199], -0.5, v[2:3], v[146:147]
	v_add_f64 v[2:3], v[172:173], -v[168:169]
	v_fma_f64 v[194:195], s[16:17], v[2:3], v[198:199]
	v_fmac_f64_e32 v[198:199], s[4:5], v[2:3]
	s_movk_i32 s4, 0x9c
	v_mul_u32_u24_e32 v2, 0x9c, v6
	v_mad_legacy_u16 v1, v8, s4, v1
	v_add_lshl_u32 v2, v2, v7, 4
	v_lshlrev_b32_e32 v1, 4, v1
	ds_write_b128 v2, v[176:179]
	ds_write_b128 v2, v[180:183] offset:832
	ds_write_b128 v2, v[160:163] offset:1664
	ds_write_b128 v1, v[184:187]
	ds_write_b128 v1, v[188:191] offset:832
	v_accvgpr_write_b32 a57, v1
	ds_write_b128 v1, v[156:159] offset:1664
	v_mad_legacy_u16 v1, v9, s4, v12
	v_lshlrev_b32_e32 v1, 4, v1
	ds_write_b128 v1, v[200:203]
	ds_write_b128 v1, v[204:207] offset:832
	v_accvgpr_write_b32 a58, v1
	ds_write_b128 v1, v[152:155] offset:1664
	v_mad_legacy_u16 v1, v10, s4, v11
	v_lshlrev_b32_e32 v1, 4, v1
	ds_write_b128 v1, v[208:211]
	ds_write_b128 v1, v[212:215] offset:832
	v_accvgpr_write_b32 a59, v1
	ds_write_b128 v1, v[148:151] offset:1664
	v_lshlrev_b32_e32 v1, 4, v13
	v_accvgpr_write_b32 a56, v2
	v_accvgpr_write_b32 a55, v1
	s_and_saveexec_b64 s[4:5], vcc
	s_cbranch_execz .LBB0_9
; %bb.8:
	v_add_f64 v[2:3], v[146:147], v[174:175]
	v_add_f64 v[146:147], v[2:3], v[164:165]
	;; [unrolled: 1-line block ×4, first 2 shown]
	v_accvgpr_read_b32 v1, a55
	ds_write_b128 v1, v[144:147] offset:29952
	ds_write_b128 v1, v[192:195] offset:30784
	;; [unrolled: 1-line block ×3, first 2 shown]
.LBB0_9:
	s_or_b64 exec, exec, s[4:5]
	v_mov_b32_e32 v1, s13
	v_addc_co_u32_e64 v1, s[2:3], 0, v1, s[2:3]
	s_movk_i32 s2, 0xc0
	v_pk_mov_b32 v[2:3], s[14:15], s[14:15] op_sel:[0,1]
	v_mad_u64_u32 v[254:255], s[2:3], v14, s2, v[2:3]
	s_waitcnt lgkmcnt(0)
	s_barrier
	ds_read_b128 v[200:203], v253
	ds_read_b128 v[156:159], v253 offset:2496
	ds_read_b128 v[160:163], v253 offset:4992
	;; [unrolled: 1-line block ×12, first 2 shown]
	global_load_dwordx4 v[144:147], v[254:255], off offset:2336
	global_load_dwordx4 v[148:151], v[254:255], off offset:2320
	;; [unrolled: 1-line block ×4, first 2 shown]
	s_mov_b32 s20, 0x4267c47c
	s_mov_b32 s14, 0x42a4c3d2
	;; [unrolled: 1-line block ×22, first 2 shown]
	v_accvgpr_write_b32 a0, v14
	s_mov_b32 s39, 0x3fe5384d
	s_mov_b32 s38, s26
	;; [unrolled: 1-line block ×11, first 2 shown]
	s_movk_i32 s2, 0x7ec0
	s_waitcnt vmcnt(3) lgkmcnt(8)
	v_mul_f64 v[230:231], v[184:185], v[146:147]
	s_waitcnt vmcnt(2)
	v_mul_f64 v[242:243], v[164:165], v[150:151]
	s_waitcnt vmcnt(1)
	;; [unrolled: 2-line block ×3, first 2 shown]
	v_mul_f64 v[2:3], v[158:159], v[170:171]
	v_fma_f64 v[248:249], v[156:157], v[168:169], -v[2:3]
	v_mul_f64 v[2:3], v[162:163], v[154:155]
	v_fma_f64 v[244:245], v[160:161], v[152:153], -v[2:3]
	v_mul_f64 v[2:3], v[166:167], v[150:151]
	v_mul_f64 v[250:251], v[156:157], v[170:171]
	v_fma_f64 v[240:241], v[164:165], v[148:149], -v[2:3]
	v_mul_f64 v[2:3], v[186:187], v[146:147]
	v_fmac_f64_e32 v[250:251], v[158:159], v[168:169]
	v_fmac_f64_e32 v[246:247], v[162:163], v[152:153]
	;; [unrolled: 1-line block ×3, first 2 shown]
	v_fma_f64 v[228:229], v[184:185], v[144:145], -v[2:3]
	v_fmac_f64_e32 v[230:231], v[186:187], v[144:145]
	global_load_dwordx4 v[156:159], v[254:255], off offset:2400
	global_load_dwordx4 v[160:163], v[254:255], off offset:2384
	;; [unrolled: 1-line block ×4, first 2 shown]
	s_waitcnt vmcnt(3) lgkmcnt(4)
	v_mul_f64 v[238:239], v[172:173], v[158:159]
	s_waitcnt vmcnt(2)
	v_mul_f64 v[226:227], v[176:177], v[162:163]
	s_waitcnt vmcnt(1)
	;; [unrolled: 2-line block ×3, first 2 shown]
	v_mul_f64 v[2:3], v[190:191], v[186:187]
	v_fma_f64 v[232:233], v[188:189], v[184:185], -v[2:3]
	v_mul_f64 v[2:3], v[182:183], v[166:167]
	v_fma_f64 v[220:221], v[180:181], v[164:165], -v[2:3]
	v_mul_f64 v[2:3], v[178:179], v[162:163]
	v_mul_f64 v[234:235], v[188:189], v[186:187]
	v_fma_f64 v[224:225], v[176:177], v[160:161], -v[2:3]
	v_mul_f64 v[2:3], v[174:175], v[158:159]
	v_fmac_f64_e32 v[234:235], v[190:191], v[184:185]
	v_fmac_f64_e32 v[222:223], v[182:183], v[164:165]
	;; [unrolled: 1-line block ×3, first 2 shown]
	v_fma_f64 v[236:237], v[172:173], v[156:157], -v[2:3]
	v_fmac_f64_e32 v[238:239], v[174:175], v[156:157]
	global_load_dwordx4 v[172:175], v[254:255], off offset:2464
	global_load_dwordx4 v[176:179], v[254:255], off offset:2448
	;; [unrolled: 1-line block ×4, first 2 shown]
	s_waitcnt vmcnt(2) lgkmcnt(1)
	v_mul_f64 v[4:5], v[208:209], v[178:179]
	v_fmac_f64_e32 v[4:5], v[210:211], v[176:177]
	s_waitcnt vmcnt(0)
	v_mul_f64 v[2:3], v[218:219], v[190:191]
	v_fma_f64 v[254:255], v[216:217], v[188:189], -v[2:3]
	v_mul_f64 v[216:217], v[216:217], v[190:191]
	v_mul_f64 v[2:3], v[214:215], v[182:183]
	v_fmac_f64_e32 v[216:217], v[218:219], v[188:189]
	v_fma_f64 v[218:219], v[212:213], v[180:181], -v[2:3]
	v_mul_f64 v[2:3], v[210:211], v[178:179]
	v_fma_f64 v[2:3], v[208:209], v[176:177], -v[2:3]
	s_waitcnt lgkmcnt(0)
	v_mul_f64 v[208:209], v[206:207], v[174:175]
	v_fma_f64 v[208:209], v[204:205], v[172:173], -v[208:209]
	v_mul_f64 v[210:211], v[204:205], v[174:175]
	v_add_f64 v[204:205], v[200:201], v[248:249]
	v_add_f64 v[204:205], v[204:205], v[244:245]
	;; [unrolled: 1-line block ×3, first 2 shown]
	v_fmac_f64_e32 v[210:211], v[206:207], v[172:173]
	v_add_f64 v[206:207], v[202:203], v[250:251]
	v_add_f64 v[204:205], v[204:205], v[228:229]
	;; [unrolled: 1-line block ×14, first 2 shown]
	v_mul_f64 v[212:213], v[212:213], v[182:183]
	v_add_f64 v[206:207], v[206:207], v[238:239]
	v_add_f64 v[204:205], v[204:205], v[2:3]
	v_fmac_f64_e32 v[212:213], v[214:215], v[180:181]
	v_add_f64 v[206:207], v[206:207], v[216:217]
	v_add_f64 v[204:205], v[204:205], v[208:209]
	;; [unrolled: 1-line block ×3, first 2 shown]
	v_add_f64 v[208:209], v[248:249], -v[208:209]
	v_add_f64 v[206:207], v[206:207], v[212:213]
	v_add_f64 v[6:7], v[250:251], v[210:211]
	v_mul_f64 v[8:9], v[208:209], s[20:21]
	v_mul_f64 v[16:17], v[208:209], s[14:15]
	;; [unrolled: 1-line block ×6, first 2 shown]
	v_add_f64 v[206:207], v[206:207], v[4:5]
	v_fma_f64 v[10:11], s[22:23], v[6:7], v[8:9]
	v_fma_f64 v[8:9], v[6:7], s[22:23], -v[8:9]
	v_fma_f64 v[18:19], s[16:17], v[6:7], v[16:17]
	v_fma_f64 v[16:17], v[6:7], s[16:17], -v[16:17]
	;; [unrolled: 2-line block ×6, first 2 shown]
	v_add_f64 v[46:47], v[244:245], v[2:3]
	v_add_f64 v[2:3], v[244:245], -v[2:3]
	v_add_f64 v[206:207], v[206:207], v[210:211]
	v_add_f64 v[210:211], v[250:251], -v[210:211]
	v_add_f64 v[10:11], v[202:203], v[10:11]
	v_add_f64 v[8:9], v[202:203], v[8:9]
	;; [unrolled: 1-line block ×13, first 2 shown]
	v_mul_f64 v[244:245], v[2:3], s[14:15]
	v_mul_f64 v[12:13], v[210:211], s[14:15]
	v_add_f64 v[4:5], v[246:247], -v[4:5]
	v_fma_f64 v[246:247], s[16:17], v[202:203], v[244:245]
	v_fma_f64 v[244:245], v[202:203], s[16:17], -v[244:245]
	v_fma_f64 v[14:15], v[214:215], s[16:17], -v[12:13]
	v_add_f64 v[8:9], v[244:245], v[8:9]
	v_mul_f64 v[244:245], v[4:5], s[18:19]
	v_mul_f64 v[248:249], v[210:211], s[20:21]
	v_add_f64 v[14:15], v[200:201], v[14:15]
	v_fmac_f64_e32 v[12:13], s[16:17], v[214:215]
	v_mul_f64 v[20:21], v[210:211], s[4:5]
	v_mul_f64 v[28:29], v[210:211], s[18:19]
	;; [unrolled: 1-line block ×4, first 2 shown]
	v_add_f64 v[10:11], v[246:247], v[10:11]
	v_fma_f64 v[246:247], v[46:47], s[24:25], -v[244:245]
	v_fma_f64 v[250:251], v[214:215], s[22:23], -v[248:249]
	v_fmac_f64_e32 v[248:249], s[22:23], v[214:215]
	v_add_f64 v[12:13], v[200:201], v[12:13]
	v_fma_f64 v[22:23], v[214:215], s[12:13], -v[20:21]
	v_fmac_f64_e32 v[20:21], s[12:13], v[214:215]
	v_fma_f64 v[30:31], v[214:215], s[24:25], -v[28:29]
	v_fmac_f64_e32 v[28:29], s[24:25], v[214:215]
	v_fma_f64 v[38:39], v[214:215], s[28:29], -v[36:37]
	v_fmac_f64_e32 v[36:37], s[28:29], v[214:215]
	v_fma_f64 v[44:45], v[214:215], s[36:37], -v[210:211]
	v_fmac_f64_e32 v[210:211], s[36:37], v[214:215]
	v_add_f64 v[14:15], v[246:247], v[14:15]
	v_mul_f64 v[246:247], v[2:3], s[18:19]
	v_fmac_f64_e32 v[244:245], s[24:25], v[46:47]
	v_add_f64 v[250:251], v[200:201], v[250:251]
	v_add_f64 v[248:249], v[200:201], v[248:249]
	;; [unrolled: 1-line block ×10, first 2 shown]
	v_mul_f64 v[210:211], v[4:5], s[14:15]
	v_add_f64 v[12:13], v[244:245], v[12:13]
	v_fma_f64 v[244:245], v[202:203], s[24:25], -v[246:247]
	v_fma_f64 v[214:215], v[46:47], s[16:17], -v[210:211]
	v_fmac_f64_e32 v[210:211], s[16:17], v[46:47]
	v_add_f64 v[16:17], v[244:245], v[16:17]
	v_mul_f64 v[244:245], v[4:5], s[34:35]
	v_add_f64 v[210:211], v[210:211], v[248:249]
	v_fma_f64 v[248:249], s[24:25], v[202:203], v[246:247]
	v_fma_f64 v[246:247], v[46:47], s[36:37], -v[244:245]
	v_add_f64 v[22:23], v[246:247], v[22:23]
	v_mul_f64 v[246:247], v[2:3], s[34:35]
	v_fmac_f64_e32 v[244:245], s[36:37], v[46:47]
	v_add_f64 v[20:21], v[244:245], v[20:21]
	v_fma_f64 v[244:245], v[202:203], s[36:37], -v[246:247]
	v_add_f64 v[24:25], v[244:245], v[24:25]
	v_mul_f64 v[244:245], v[4:5], s[38:39]
	v_add_f64 v[18:19], v[248:249], v[18:19]
	v_fma_f64 v[248:249], s[36:37], v[202:203], v[246:247]
	v_fma_f64 v[246:247], v[46:47], s[28:29], -v[244:245]
	v_add_f64 v[30:31], v[246:247], v[30:31]
	v_mul_f64 v[246:247], v[2:3], s[38:39]
	v_fmac_f64_e32 v[244:245], s[28:29], v[46:47]
	v_add_f64 v[28:29], v[244:245], v[28:29]
	v_fma_f64 v[244:245], v[202:203], s[28:29], -v[246:247]
	;; [unrolled: 10-line block ×3, first 2 shown]
	v_mul_f64 v[4:5], v[4:5], s[42:43]
	v_add_f64 v[40:41], v[244:245], v[40:41]
	v_fma_f64 v[244:245], v[46:47], s[22:23], -v[4:5]
	v_mul_f64 v[2:3], v[2:3], s[42:43]
	v_add_f64 v[34:35], v[248:249], v[34:35]
	v_fma_f64 v[248:249], s[12:13], v[202:203], v[246:247]
	v_add_f64 v[44:45], v[244:245], v[44:45]
	v_fma_f64 v[244:245], s[22:23], v[202:203], v[2:3]
	v_fma_f64 v[2:3], v[202:203], s[22:23], -v[2:3]
	v_add_f64 v[202:203], v[242:243], -v[212:213]
	v_fmac_f64_e32 v[4:5], s[22:23], v[46:47]
	v_add_f64 v[2:3], v[2:3], v[6:7]
	v_add_f64 v[6:7], v[240:241], v[218:219]
	;; [unrolled: 1-line block ×3, first 2 shown]
	v_mul_f64 v[212:213], v[202:203], s[4:5]
	v_add_f64 v[214:215], v[214:215], v[250:251]
	v_add_f64 v[4:5], v[4:5], v[200:201]
	v_add_f64 v[200:201], v[240:241], -v[218:219]
	v_fma_f64 v[218:219], v[6:7], s[12:13], -v[212:213]
	v_add_f64 v[214:215], v[218:219], v[214:215]
	v_mul_f64 v[218:219], v[200:201], s[4:5]
	v_fmac_f64_e32 v[212:213], s[12:13], v[6:7]
	v_add_f64 v[210:211], v[212:213], v[210:211]
	v_fma_f64 v[212:213], v[46:47], s[12:13], -v[218:219]
	v_add_f64 v[8:9], v[212:213], v[8:9]
	v_mul_f64 v[212:213], v[202:203], s[34:35]
	v_fma_f64 v[240:241], s[12:13], v[46:47], v[218:219]
	v_fma_f64 v[218:219], v[6:7], s[36:37], -v[212:213]
	v_add_f64 v[14:15], v[218:219], v[14:15]
	v_mul_f64 v[218:219], v[200:201], s[34:35]
	v_fmac_f64_e32 v[212:213], s[36:37], v[6:7]
	v_add_f64 v[12:13], v[212:213], v[12:13]
	v_fma_f64 v[212:213], v[46:47], s[36:37], -v[218:219]
	v_add_f64 v[16:17], v[212:213], v[16:17]
	v_mul_f64 v[212:213], v[202:203], s[40:41]
	v_add_f64 v[10:11], v[240:241], v[10:11]
	v_fma_f64 v[240:241], s[36:37], v[46:47], v[218:219]
	v_fma_f64 v[218:219], v[6:7], s[24:25], -v[212:213]
	v_add_f64 v[22:23], v[218:219], v[22:23]
	v_mul_f64 v[218:219], v[200:201], s[40:41]
	v_fmac_f64_e32 v[212:213], s[24:25], v[6:7]
	v_add_f64 v[20:21], v[212:213], v[20:21]
	v_fma_f64 v[212:213], v[46:47], s[24:25], -v[218:219]
	v_add_f64 v[24:25], v[212:213], v[24:25]
	v_mul_f64 v[212:213], v[202:203], s[42:43]
	v_add_f64 v[18:19], v[240:241], v[18:19]
	;; [unrolled: 10-line block ×3, first 2 shown]
	v_fma_f64 v[240:241], s[22:23], v[46:47], v[218:219]
	v_fma_f64 v[218:219], v[6:7], s[16:17], -v[212:213]
	v_add_f64 v[38:39], v[218:219], v[38:39]
	v_mul_f64 v[218:219], v[200:201], s[14:15]
	v_fmac_f64_e32 v[212:213], s[16:17], v[6:7]
	v_add_f64 v[36:37], v[212:213], v[36:37]
	v_fma_f64 v[212:213], v[46:47], s[16:17], -v[218:219]
	v_mul_f64 v[202:203], v[202:203], s[26:27]
	v_add_f64 v[40:41], v[212:213], v[40:41]
	v_fma_f64 v[212:213], v[6:7], s[28:29], -v[202:203]
	v_mul_f64 v[200:201], v[200:201], s[26:27]
	v_fmac_f64_e32 v[202:203], s[28:29], v[6:7]
	v_add_f64 v[208:209], v[244:245], v[208:209]
	v_add_f64 v[44:45], v[212:213], v[44:45]
	v_fma_f64 v[212:213], s[28:29], v[46:47], v[200:201]
	v_add_f64 v[4:5], v[202:203], v[4:5]
	v_fma_f64 v[6:7], v[46:47], s[28:29], -v[200:201]
	v_add_f64 v[202:203], v[230:231], -v[216:217]
	v_add_f64 v[208:209], v[212:213], v[208:209]
	v_add_f64 v[2:3], v[6:7], v[2:3]
	;; [unrolled: 1-line block ×3, first 2 shown]
	v_mul_f64 v[212:213], v[202:203], s[18:19]
	v_add_f64 v[34:35], v[240:241], v[34:35]
	v_fma_f64 v[240:241], s[16:17], v[46:47], v[218:219]
	v_add_f64 v[46:47], v[230:231], v[216:217]
	v_add_f64 v[200:201], v[228:229], -v[254:255]
	v_fma_f64 v[216:217], v[6:7], s[24:25], -v[212:213]
	v_add_f64 v[214:215], v[216:217], v[214:215]
	v_mul_f64 v[216:217], v[200:201], s[18:19]
	v_fmac_f64_e32 v[212:213], s[24:25], v[6:7]
	v_add_f64 v[210:211], v[212:213], v[210:211]
	v_fma_f64 v[212:213], v[46:47], s[24:25], -v[216:217]
	v_add_f64 v[8:9], v[212:213], v[8:9]
	v_mul_f64 v[212:213], v[202:203], s[38:39]
	v_fma_f64 v[218:219], s[24:25], v[46:47], v[216:217]
	v_fma_f64 v[216:217], v[6:7], s[28:29], -v[212:213]
	v_add_f64 v[14:15], v[216:217], v[14:15]
	v_mul_f64 v[216:217], v[200:201], s[38:39]
	v_fmac_f64_e32 v[212:213], s[28:29], v[6:7]
	v_add_f64 v[12:13], v[212:213], v[12:13]
	v_fma_f64 v[212:213], v[46:47], s[28:29], -v[216:217]
	v_add_f64 v[16:17], v[212:213], v[16:17]
	v_mul_f64 v[212:213], v[202:203], s[42:43]
	v_add_f64 v[10:11], v[218:219], v[10:11]
	v_fma_f64 v[218:219], s[28:29], v[46:47], v[216:217]
	v_fma_f64 v[216:217], v[6:7], s[22:23], -v[212:213]
	v_add_f64 v[22:23], v[216:217], v[22:23]
	v_mul_f64 v[216:217], v[200:201], s[42:43]
	v_fmac_f64_e32 v[212:213], s[22:23], v[6:7]
	v_add_f64 v[20:21], v[212:213], v[20:21]
	v_fma_f64 v[212:213], v[46:47], s[22:23], -v[216:217]
	v_add_f64 v[24:25], v[212:213], v[24:25]
	v_mul_f64 v[212:213], v[202:203], s[4:5]
	v_add_f64 v[18:19], v[218:219], v[18:19]
	;; [unrolled: 10-line block ×3, first 2 shown]
	v_fma_f64 v[218:219], s[12:13], v[46:47], v[216:217]
	v_fma_f64 v[216:217], v[6:7], s[36:37], -v[212:213]
	v_add_f64 v[38:39], v[216:217], v[38:39]
	v_mul_f64 v[216:217], v[200:201], s[46:47]
	v_fmac_f64_e32 v[212:213], s[36:37], v[6:7]
	v_add_f64 v[36:37], v[212:213], v[36:37]
	v_fma_f64 v[212:213], v[46:47], s[36:37], -v[216:217]
	v_mul_f64 v[202:203], v[202:203], s[44:45]
	v_add_f64 v[40:41], v[212:213], v[40:41]
	v_fma_f64 v[212:213], v[6:7], s[16:17], -v[202:203]
	v_mul_f64 v[200:201], v[200:201], s[44:45]
	v_fmac_f64_e32 v[202:203], s[16:17], v[6:7]
	v_add_f64 v[44:45], v[212:213], v[44:45]
	v_fma_f64 v[212:213], s[16:17], v[46:47], v[200:201]
	v_add_f64 v[4:5], v[202:203], v[4:5]
	v_fma_f64 v[6:7], v[46:47], s[16:17], -v[200:201]
	v_add_f64 v[202:203], v[234:235], -v[238:239]
	v_add_f64 v[208:209], v[212:213], v[208:209]
	v_add_f64 v[2:3], v[6:7], v[2:3]
	;; [unrolled: 1-line block ×3, first 2 shown]
	v_mul_f64 v[212:213], v[202:203], s[26:27]
	v_add_f64 v[34:35], v[218:219], v[34:35]
	v_fma_f64 v[218:219], s[36:37], v[46:47], v[216:217]
	v_add_f64 v[200:201], v[232:233], -v[236:237]
	v_fma_f64 v[216:217], v[6:7], s[28:29], -v[212:213]
	v_add_f64 v[46:47], v[234:235], v[238:239]
	v_add_f64 v[214:215], v[216:217], v[214:215]
	v_mul_f64 v[216:217], v[200:201], s[26:27]
	v_fmac_f64_e32 v[212:213], s[28:29], v[6:7]
	v_add_f64 v[42:43], v[248:249], v[42:43]
	v_add_f64 v[210:211], v[212:213], v[210:211]
	v_fma_f64 v[212:213], v[46:47], s[28:29], -v[216:217]
	v_add_f64 v[42:43], v[240:241], v[42:43]
	v_add_f64 v[8:9], v[212:213], v[8:9]
	v_mul_f64 v[212:213], v[202:203], s[30:31]
	v_add_f64 v[42:43], v[218:219], v[42:43]
	v_fma_f64 v[218:219], s[28:29], v[46:47], v[216:217]
	v_fma_f64 v[216:217], v[6:7], s[12:13], -v[212:213]
	v_add_f64 v[14:15], v[216:217], v[14:15]
	v_mul_f64 v[216:217], v[200:201], s[30:31]
	v_fmac_f64_e32 v[212:213], s[12:13], v[6:7]
	v_add_f64 v[12:13], v[212:213], v[12:13]
	v_fma_f64 v[212:213], v[46:47], s[12:13], -v[216:217]
	v_add_f64 v[16:17], v[212:213], v[16:17]
	v_mul_f64 v[212:213], v[202:203], s[14:15]
	v_add_f64 v[10:11], v[218:219], v[10:11]
	v_fma_f64 v[218:219], s[12:13], v[46:47], v[216:217]
	v_fma_f64 v[216:217], v[6:7], s[16:17], -v[212:213]
	v_add_f64 v[22:23], v[216:217], v[22:23]
	v_mul_f64 v[216:217], v[200:201], s[14:15]
	v_fmac_f64_e32 v[212:213], s[16:17], v[6:7]
	v_add_f64 v[20:21], v[212:213], v[20:21]
	v_fma_f64 v[212:213], v[46:47], s[16:17], -v[216:217]
	;; [unrolled: 10-line block ×4, first 2 shown]
	v_mul_f64 v[202:203], v[202:203], s[18:19]
	v_add_f64 v[40:41], v[212:213], v[40:41]
	v_fma_f64 v[212:213], v[6:7], s[24:25], -v[202:203]
	v_mul_f64 v[200:201], v[200:201], s[18:19]
	v_add_f64 v[44:45], v[212:213], v[44:45]
	v_fma_f64 v[212:213], s[24:25], v[46:47], v[200:201]
	v_add_f64 v[248:249], v[220:221], -v[224:225]
	v_add_f64 v[34:35], v[218:219], v[34:35]
	v_fma_f64 v[218:219], s[22:23], v[46:47], v[216:217]
	v_add_f64 v[246:247], v[212:213], v[208:209]
	v_fmac_f64_e32 v[202:203], s[24:25], v[6:7]
	v_fma_f64 v[6:7], v[46:47], s[24:25], -v[200:201]
	v_add_f64 v[46:47], v[222:223], v[226:227]
	v_add_f64 v[244:245], v[222:223], -v[226:227]
	v_mul_f64 v[212:213], v[248:249], s[34:35]
	v_add_f64 v[4:5], v[202:203], v[4:5]
	v_add_f64 v[2:3], v[6:7], v[2:3]
	v_add_f64 v[6:7], v[220:221], v[224:225]
	v_mul_f64 v[208:209], v[244:245], s[34:35]
	v_fma_f64 v[202:203], s[36:37], v[46:47], v[212:213]
	v_fma_f64 v[200:201], v[6:7], s[36:37], -v[208:209]
	v_add_f64 v[202:203], v[202:203], v[10:11]
	v_fmac_f64_e32 v[208:209], s[36:37], v[6:7]
	v_fma_f64 v[10:11], v[46:47], s[36:37], -v[212:213]
	v_add_f64 v[208:209], v[208:209], v[210:211]
	v_add_f64 v[210:211], v[10:11], v[8:9]
	v_mul_f64 v[8:9], v[244:245], s[42:43]
	v_fma_f64 v[10:11], v[6:7], s[22:23], -v[8:9]
	v_add_f64 v[212:213], v[10:11], v[14:15]
	v_mul_f64 v[10:11], v[248:249], s[42:43]
	v_fmac_f64_e32 v[8:9], s[22:23], v[6:7]
	v_add_f64 v[216:217], v[8:9], v[12:13]
	v_fma_f64 v[8:9], v[46:47], s[22:23], -v[10:11]
	v_add_f64 v[42:43], v[218:219], v[42:43]
	v_add_f64 v[218:219], v[8:9], v[16:17]
	v_mul_f64 v[8:9], v[244:245], s[26:27]
	v_fma_f64 v[14:15], s[22:23], v[46:47], v[10:11]
	v_fma_f64 v[10:11], v[6:7], s[28:29], -v[8:9]
	v_add_f64 v[220:221], v[10:11], v[22:23]
	v_mul_f64 v[10:11], v[248:249], s[26:27]
	v_fmac_f64_e32 v[8:9], s[28:29], v[6:7]
	v_add_f64 v[224:225], v[8:9], v[20:21]
	v_fma_f64 v[8:9], v[46:47], s[28:29], -v[10:11]
	v_add_f64 v[226:227], v[8:9], v[24:25]
	v_mul_f64 v[8:9], v[244:245], s[44:45]
	v_fma_f64 v[12:13], s[28:29], v[46:47], v[10:11]
	v_fma_f64 v[10:11], v[6:7], s[16:17], -v[8:9]
	v_add_f64 v[228:229], v[10:11], v[30:31]
	v_mul_f64 v[10:11], v[248:249], s[44:45]
	v_fmac_f64_e32 v[8:9], s[16:17], v[6:7]
	v_add_f64 v[232:233], v[8:9], v[28:29]
	v_fma_f64 v[8:9], v[46:47], s[16:17], -v[10:11]
	v_add_f64 v[234:235], v[8:9], v[32:33]
	v_mul_f64 v[8:9], v[244:245], s[18:19]
	v_add_f64 v[222:223], v[12:13], v[26:27]
	v_fma_f64 v[12:13], s[16:17], v[46:47], v[10:11]
	v_fma_f64 v[10:11], v[6:7], s[24:25], -v[8:9]
	v_add_f64 v[236:237], v[10:11], v[38:39]
	v_mul_f64 v[10:11], v[248:249], s[18:19]
	v_fmac_f64_e32 v[8:9], s[24:25], v[6:7]
	v_add_f64 v[240:241], v[8:9], v[36:37]
	v_fma_f64 v[8:9], v[46:47], s[24:25], -v[10:11]
	v_add_f64 v[242:243], v[8:9], v[40:41]
	v_mul_f64 v[8:9], v[244:245], s[30:31]
	v_add_f64 v[230:231], v[12:13], v[34:35]
	v_fma_f64 v[12:13], s[24:25], v[46:47], v[10:11]
	v_fma_f64 v[10:11], v[6:7], s[12:13], -v[8:9]
	v_add_f64 v[244:245], v[10:11], v[44:45]
	v_mul_f64 v[10:11], v[248:249], s[30:31]
	v_fmac_f64_e32 v[8:9], s[12:13], v[6:7]
	v_add_f64 v[248:249], v[8:9], v[4:5]
	v_fma_f64 v[4:5], v[46:47], s[12:13], -v[10:11]
	v_add_f64 v[250:251], v[4:5], v[2:3]
	v_add_co_u32_e64 v2, s[2:3], s2, v252
	v_addc_co_u32_e64 v3, s[2:3], 0, v1, s[2:3]
	s_movk_i32 s2, 0x7000
	v_add_co_u32_e64 v4, s[2:3], s2, v252
	v_add_f64 v[238:239], v[12:13], v[42:43]
	v_fma_f64 v[12:13], s[12:13], v[46:47], v[10:11]
	v_addc_co_u32_e64 v5, s[2:3], 0, v1, s[2:3]
	v_add_f64 v[200:201], v[200:201], v[214:215]
	v_add_f64 v[214:215], v[14:15], v[18:19]
	v_add_f64 v[246:247], v[12:13], v[246:247]
	ds_write_b128 v253, v[204:207]
	ds_write_b128 v253, v[200:203] offset:2496
	ds_write_b128 v253, v[212:215] offset:4992
	;; [unrolled: 1-line block ×12, first 2 shown]
	s_waitcnt lgkmcnt(0)
	s_barrier
	global_load_dwordx4 v[204:207], v[4:5], off offset:3776
	ds_read_b128 v[200:203], v253
	s_mov_b32 s2, 0x9000
	s_waitcnt vmcnt(0) lgkmcnt(0)
	v_mul_f64 v[4:5], v[202:203], v[206:207]
	v_mul_f64 v[210:211], v[200:201], v[206:207]
	v_fma_f64 v[208:209], v[200:201], v[204:205], -v[4:5]
	v_fmac_f64_e32 v[210:211], v[202:203], v[204:205]
	global_load_dwordx4 v[204:207], v[2:3], off offset:2496
	ds_read_b128 v[200:203], v253 offset:2496
	ds_write_b128 v253, v[208:211]
	s_waitcnt vmcnt(0) lgkmcnt(1)
	v_mul_f64 v[2:3], v[202:203], v[206:207]
	v_fma_f64 v[208:209], v[200:201], v[204:205], -v[2:3]
	v_add_co_u32_e64 v2, s[2:3], s2, v252
	v_mul_f64 v[210:211], v[200:201], v[206:207]
	v_addc_co_u32_e64 v3, s[2:3], 0, v1, s[2:3]
	v_fmac_f64_e32 v[210:211], v[202:203], v[204:205]
	global_load_dwordx4 v[204:207], v[2:3], off offset:576
	ds_read_b128 v[200:203], v253 offset:4992
	ds_write_b128 v253, v[208:211] offset:2496
	s_mov_b32 s2, 0xa000
	s_waitcnt vmcnt(0) lgkmcnt(1)
	v_mul_f64 v[4:5], v[202:203], v[206:207]
	v_mul_f64 v[210:211], v[200:201], v[206:207]
	v_fma_f64 v[208:209], v[200:201], v[204:205], -v[4:5]
	v_fmac_f64_e32 v[210:211], v[202:203], v[204:205]
	global_load_dwordx4 v[204:207], v[2:3], off offset:3072
	ds_read_b128 v[200:203], v253 offset:7488
	ds_write_b128 v253, v[208:211] offset:4992
	s_waitcnt vmcnt(0) lgkmcnt(1)
	v_mul_f64 v[2:3], v[202:203], v[206:207]
	v_fma_f64 v[208:209], v[200:201], v[204:205], -v[2:3]
	v_add_co_u32_e64 v2, s[2:3], s2, v252
	v_mul_f64 v[210:211], v[200:201], v[206:207]
	v_addc_co_u32_e64 v3, s[2:3], 0, v1, s[2:3]
	v_fmac_f64_e32 v[210:211], v[202:203], v[204:205]
	global_load_dwordx4 v[204:207], v[2:3], off offset:1472
	ds_read_b128 v[200:203], v253 offset:9984
	ds_write_b128 v253, v[208:211] offset:7488
	s_mov_b32 s2, 0xb000
	s_waitcnt vmcnt(0) lgkmcnt(1)
	v_mul_f64 v[4:5], v[202:203], v[206:207]
	v_mul_f64 v[210:211], v[200:201], v[206:207]
	v_fma_f64 v[208:209], v[200:201], v[204:205], -v[4:5]
	v_fmac_f64_e32 v[210:211], v[202:203], v[204:205]
	global_load_dwordx4 v[204:207], v[2:3], off offset:3968
	ds_read_b128 v[200:203], v253 offset:12480
	ds_write_b128 v253, v[208:211] offset:9984
	s_waitcnt vmcnt(0) lgkmcnt(1)
	v_mul_f64 v[2:3], v[202:203], v[206:207]
	v_fma_f64 v[208:209], v[200:201], v[204:205], -v[2:3]
	v_add_co_u32_e64 v2, s[2:3], s2, v252
	v_mul_f64 v[210:211], v[200:201], v[206:207]
	v_addc_co_u32_e64 v3, s[2:3], 0, v1, s[2:3]
	v_fmac_f64_e32 v[210:211], v[202:203], v[204:205]
	global_load_dwordx4 v[204:207], v[2:3], off offset:2368
	ds_read_b128 v[200:203], v253 offset:14976
	s_mov_b32 s2, 0xc000
	ds_write_b128 v253, v[208:211] offset:12480
	s_waitcnt vmcnt(0) lgkmcnt(1)
	v_mul_f64 v[2:3], v[202:203], v[206:207]
	v_fma_f64 v[208:209], v[200:201], v[204:205], -v[2:3]
	v_add_co_u32_e64 v2, s[2:3], s2, v252
	v_mul_f64 v[210:211], v[200:201], v[206:207]
	v_addc_co_u32_e64 v3, s[2:3], 0, v1, s[2:3]
	v_fmac_f64_e32 v[210:211], v[202:203], v[204:205]
	global_load_dwordx4 v[204:207], v[2:3], off offset:768
	ds_read_b128 v[200:203], v253 offset:17472
	ds_write_b128 v253, v[208:211] offset:14976
	s_mov_b32 s2, 0xd000
	s_waitcnt vmcnt(0) lgkmcnt(1)
	v_mul_f64 v[4:5], v[202:203], v[206:207]
	v_mul_f64 v[210:211], v[200:201], v[206:207]
	v_fma_f64 v[208:209], v[200:201], v[204:205], -v[4:5]
	v_fmac_f64_e32 v[210:211], v[202:203], v[204:205]
	global_load_dwordx4 v[204:207], v[2:3], off offset:3264
	ds_read_b128 v[200:203], v253 offset:19968
	ds_write_b128 v253, v[208:211] offset:17472
	s_waitcnt vmcnt(0) lgkmcnt(1)
	v_mul_f64 v[2:3], v[202:203], v[206:207]
	v_fma_f64 v[208:209], v[200:201], v[204:205], -v[2:3]
	v_add_co_u32_e64 v2, s[2:3], s2, v252
	v_mul_f64 v[210:211], v[200:201], v[206:207]
	v_addc_co_u32_e64 v3, s[2:3], 0, v1, s[2:3]
	v_fmac_f64_e32 v[210:211], v[202:203], v[204:205]
	global_load_dwordx4 v[204:207], v[2:3], off offset:1664
	ds_read_b128 v[200:203], v253 offset:22464
	s_mov_b32 s2, 0xe000
	ds_write_b128 v253, v[208:211] offset:19968
	s_waitcnt vmcnt(0) lgkmcnt(1)
	v_mul_f64 v[2:3], v[202:203], v[206:207]
	v_fma_f64 v[208:209], v[200:201], v[204:205], -v[2:3]
	v_add_co_u32_e64 v2, s[2:3], s2, v252
	v_mul_f64 v[210:211], v[200:201], v[206:207]
	v_addc_co_u32_e64 v3, s[2:3], 0, v1, s[2:3]
	v_fmac_f64_e32 v[210:211], v[202:203], v[204:205]
	global_load_dwordx4 v[204:207], v[2:3], off offset:64
	ds_read_b128 v[200:203], v253 offset:24960
	ds_write_b128 v253, v[208:211] offset:22464
	s_mov_b32 s2, 0xf000
	s_waitcnt vmcnt(0) lgkmcnt(1)
	v_mul_f64 v[4:5], v[202:203], v[206:207]
	v_mul_f64 v[210:211], v[200:201], v[206:207]
	v_fma_f64 v[208:209], v[200:201], v[204:205], -v[4:5]
	v_fmac_f64_e32 v[210:211], v[202:203], v[204:205]
	global_load_dwordx4 v[204:207], v[2:3], off offset:2560
	ds_read_b128 v[200:203], v253 offset:27456
	ds_write_b128 v253, v[208:211] offset:24960
	s_waitcnt vmcnt(0) lgkmcnt(1)
	v_mul_f64 v[2:3], v[202:203], v[206:207]
	v_fma_f64 v[208:209], v[200:201], v[204:205], -v[2:3]
	v_add_co_u32_e64 v2, s[2:3], s2, v252
	v_mul_f64 v[210:211], v[200:201], v[206:207]
	v_addc_co_u32_e64 v3, s[2:3], 0, v1, s[2:3]
	v_fmac_f64_e32 v[210:211], v[202:203], v[204:205]
	global_load_dwordx4 v[204:207], v[2:3], off offset:960
	ds_read_b128 v[200:203], v253 offset:29952
	ds_write_b128 v253, v[208:211] offset:27456
	s_waitcnt vmcnt(0) lgkmcnt(1)
	v_mul_f64 v[2:3], v[202:203], v[206:207]
	v_mul_f64 v[210:211], v[200:201], v[206:207]
	v_fma_f64 v[208:209], v[200:201], v[204:205], -v[2:3]
	v_fmac_f64_e32 v[210:211], v[202:203], v[204:205]
	ds_write_b128 v253, v[208:211] offset:29952
	s_waitcnt lgkmcnt(0)
	s_barrier
	ds_read_b128 v[232:235], v253
	ds_read_b128 v[236:239], v253 offset:2496
	ds_read_b128 v[240:243], v253 offset:4992
	;; [unrolled: 1-line block ×12, first 2 shown]
	s_waitcnt lgkmcnt(11)
	v_add_f64 v[8:9], v[234:235], v[238:239]
	v_add_f64 v[6:7], v[232:233], v[236:237]
	s_waitcnt lgkmcnt(10)
	v_add_f64 v[8:9], v[8:9], v[242:243]
	v_add_f64 v[6:7], v[6:7], v[240:241]
	;; [unrolled: 3-line block ×12, first 2 shown]
	v_add_f64 v[204:205], v[6:7], v[2:3]
	v_add_f64 v[6:7], v[236:237], v[2:3]
	v_add_f64 v[2:3], v[236:237], -v[2:3]
	v_add_f64 v[4:5], v[238:239], -v[4:5]
	v_mul_f64 v[14:15], v[8:9], s[22:23]
	v_mul_f64 v[22:23], v[8:9], s[16:17]
	;; [unrolled: 1-line block ×7, first 2 shown]
	v_fma_f64 v[16:17], s[42:43], v[2:3], v[14:15]
	v_fmac_f64_e32 v[14:15], s[20:21], v[2:3]
	v_mul_f64 v[18:19], v[4:5], s[14:15]
	v_fma_f64 v[24:25], s[44:45], v[2:3], v[22:23]
	v_fmac_f64_e32 v[22:23], s[14:15], v[2:3]
	v_mul_f64 v[26:27], v[4:5], s[4:5]
	;; [unrolled: 3-line block ×5, first 2 shown]
	v_fma_f64 v[254:255], s[46:47], v[2:3], v[8:9]
	v_fmac_f64_e32 v[8:9], s[34:35], v[2:3]
	v_fma_f64 v[12:13], s[22:23], v[6:7], v[10:11]
	v_add_f64 v[16:17], v[234:235], v[16:17]
	v_fma_f64 v[10:11], v[6:7], s[22:23], -v[10:11]
	v_add_f64 v[14:15], v[234:235], v[14:15]
	v_fma_f64 v[20:21], s[16:17], v[6:7], v[18:19]
	v_add_f64 v[24:25], v[234:235], v[24:25]
	v_fma_f64 v[18:19], v[6:7], s[16:17], -v[18:19]
	v_add_f64 v[22:23], v[234:235], v[22:23]
	v_fma_f64 v[28:29], s[12:13], v[6:7], v[26:27]
	v_add_f64 v[32:33], v[234:235], v[32:33]
	v_fma_f64 v[26:27], v[6:7], s[12:13], -v[26:27]
	v_add_f64 v[30:31], v[234:235], v[30:31]
	v_fma_f64 v[36:37], s[24:25], v[6:7], v[34:35]
	v_add_f64 v[40:41], v[234:235], v[40:41]
	v_fma_f64 v[34:35], v[6:7], s[24:25], -v[34:35]
	v_add_f64 v[38:39], v[234:235], v[38:39]
	v_fma_f64 v[44:45], s[28:29], v[6:7], v[42:43]
	v_add_f64 v[236:237], v[234:235], v[236:237]
	v_fma_f64 v[42:43], v[6:7], s[28:29], -v[42:43]
	v_add_f64 v[46:47], v[234:235], v[46:47]
	v_fma_f64 v[238:239], s[36:37], v[6:7], v[4:5]
	v_add_f64 v[254:255], v[234:235], v[254:255]
	v_fma_f64 v[4:5], v[6:7], s[36:37], -v[4:5]
	v_add_f64 v[2:3], v[234:235], v[8:9]
	v_add_f64 v[234:235], v[242:243], -v[250:251]
	v_add_f64 v[12:13], v[232:233], v[12:13]
	v_add_f64 v[10:11], v[232:233], v[10:11]
	;; [unrolled: 1-line block ×13, first 2 shown]
	v_add_f64 v[232:233], v[240:241], -v[248:249]
	v_mul_f64 v[240:241], v[234:235], s[14:15]
	v_add_f64 v[8:9], v[242:243], v[250:251]
	v_fma_f64 v[242:243], s[16:17], v[6:7], v[240:241]
	v_add_f64 v[12:13], v[242:243], v[12:13]
	v_mul_f64 v[242:243], v[8:9], s[16:17]
	v_fma_f64 v[240:241], v[6:7], s[16:17], -v[240:241]
	v_fma_f64 v[248:249], s[44:45], v[232:233], v[242:243]
	v_add_f64 v[10:11], v[240:241], v[10:11]
	v_fmac_f64_e32 v[242:243], s[14:15], v[232:233]
	v_mul_f64 v[240:241], v[234:235], s[18:19]
	v_add_f64 v[14:15], v[242:243], v[14:15]
	v_fma_f64 v[242:243], s[24:25], v[6:7], v[240:241]
	v_add_f64 v[20:21], v[242:243], v[20:21]
	v_mul_f64 v[242:243], v[8:9], s[24:25]
	v_fma_f64 v[240:241], v[6:7], s[24:25], -v[240:241]
	v_add_f64 v[16:17], v[248:249], v[16:17]
	v_fma_f64 v[248:249], s[40:41], v[232:233], v[242:243]
	v_add_f64 v[18:19], v[240:241], v[18:19]
	v_fmac_f64_e32 v[242:243], s[18:19], v[232:233]
	v_mul_f64 v[240:241], v[234:235], s[34:35]
	v_add_f64 v[22:23], v[242:243], v[22:23]
	v_fma_f64 v[242:243], s[36:37], v[6:7], v[240:241]
	v_add_f64 v[28:29], v[242:243], v[28:29]
	v_mul_f64 v[242:243], v[8:9], s[36:37]
	v_fma_f64 v[240:241], v[6:7], s[36:37], -v[240:241]
	v_add_f64 v[24:25], v[248:249], v[24:25]
	;; [unrolled: 10-line block ×3, first 2 shown]
	v_fma_f64 v[248:249], s[26:27], v[232:233], v[242:243]
	v_add_f64 v[34:35], v[240:241], v[34:35]
	v_fmac_f64_e32 v[242:243], s[38:39], v[232:233]
	v_mul_f64 v[240:241], v[234:235], s[30:31]
	v_add_f64 v[38:39], v[242:243], v[38:39]
	v_fma_f64 v[242:243], s[12:13], v[6:7], v[240:241]
	v_fma_f64 v[240:241], v[6:7], s[12:13], -v[240:241]
	v_mul_f64 v[234:235], v[234:235], s[42:43]
	v_add_f64 v[44:45], v[242:243], v[44:45]
	v_mul_f64 v[242:243], v[8:9], s[12:13]
	v_add_f64 v[42:43], v[240:241], v[42:43]
	v_fma_f64 v[240:241], s[22:23], v[6:7], v[234:235]
	v_mul_f64 v[8:9], v[8:9], s[22:23]
	v_add_f64 v[238:239], v[240:241], v[238:239]
	v_fma_f64 v[240:241], s[20:21], v[232:233], v[8:9]
	v_fmac_f64_e32 v[8:9], s[42:43], v[232:233]
	v_fma_f64 v[6:7], v[6:7], s[22:23], -v[234:235]
	v_add_f64 v[2:3], v[8:9], v[2:3]
	v_add_f64 v[8:9], v[230:231], v[246:247]
	v_add_f64 v[230:231], v[230:231], -v[246:247]
	v_add_f64 v[40:41], v[248:249], v[40:41]
	v_fma_f64 v[248:249], s[4:5], v[232:233], v[242:243]
	v_fmac_f64_e32 v[242:243], s[30:31], v[232:233]
	v_add_f64 v[4:5], v[6:7], v[4:5]
	v_add_f64 v[6:7], v[228:229], v[244:245]
	v_mul_f64 v[232:233], v[230:231], s[4:5]
	v_fma_f64 v[234:235], s[12:13], v[6:7], v[232:233]
	v_add_f64 v[228:229], v[228:229], -v[244:245]
	v_add_f64 v[12:13], v[234:235], v[12:13]
	v_mul_f64 v[234:235], v[8:9], s[12:13]
	v_fma_f64 v[232:233], v[6:7], s[12:13], -v[232:233]
	v_add_f64 v[46:47], v[242:243], v[46:47]
	v_fma_f64 v[242:243], s[30:31], v[228:229], v[234:235]
	v_add_f64 v[10:11], v[232:233], v[10:11]
	v_fmac_f64_e32 v[234:235], s[4:5], v[228:229]
	v_mul_f64 v[232:233], v[230:231], s[34:35]
	v_add_f64 v[14:15], v[234:235], v[14:15]
	v_fma_f64 v[234:235], s[36:37], v[6:7], v[232:233]
	v_add_f64 v[20:21], v[234:235], v[20:21]
	v_mul_f64 v[234:235], v[8:9], s[36:37]
	v_fma_f64 v[232:233], v[6:7], s[36:37], -v[232:233]
	v_add_f64 v[16:17], v[242:243], v[16:17]
	v_fma_f64 v[242:243], s[46:47], v[228:229], v[234:235]
	v_add_f64 v[18:19], v[232:233], v[18:19]
	v_fmac_f64_e32 v[234:235], s[34:35], v[228:229]
	v_mul_f64 v[232:233], v[230:231], s[40:41]
	v_add_f64 v[22:23], v[234:235], v[22:23]
	v_fma_f64 v[234:235], s[24:25], v[6:7], v[232:233]
	;; [unrolled: 10-line block ×4, first 2 shown]
	v_add_f64 v[44:45], v[234:235], v[44:45]
	v_mul_f64 v[234:235], v[8:9], s[16:17]
	v_add_f64 v[40:41], v[242:243], v[40:41]
	v_fma_f64 v[242:243], s[44:45], v[228:229], v[234:235]
	v_fmac_f64_e32 v[234:235], s[14:15], v[228:229]
	v_mul_f64 v[8:9], v[8:9], s[28:29]
	v_fma_f64 v[232:233], v[6:7], s[16:17], -v[232:233]
	v_add_f64 v[46:47], v[234:235], v[46:47]
	v_mul_f64 v[230:231], v[230:231], s[26:27]
	v_fma_f64 v[234:235], s[38:39], v[228:229], v[8:9]
	v_fmac_f64_e32 v[8:9], s[26:27], v[228:229]
	v_add_f64 v[42:43], v[232:233], v[42:43]
	v_fma_f64 v[232:233], s[28:29], v[6:7], v[230:231]
	v_fma_f64 v[6:7], v[6:7], s[28:29], -v[230:231]
	v_add_f64 v[2:3], v[8:9], v[2:3]
	v_add_f64 v[8:9], v[222:223], v[226:227]
	v_add_f64 v[222:223], v[222:223], -v[226:227]
	v_add_f64 v[4:5], v[6:7], v[4:5]
	v_add_f64 v[6:7], v[220:221], v[224:225]
	v_add_f64 v[220:221], v[220:221], -v[224:225]
	v_mul_f64 v[224:225], v[222:223], s[18:19]
	v_fma_f64 v[226:227], s[24:25], v[6:7], v[224:225]
	v_add_f64 v[12:13], v[226:227], v[12:13]
	v_mul_f64 v[226:227], v[8:9], s[24:25]
	v_fma_f64 v[224:225], v[6:7], s[24:25], -v[224:225]
	v_fma_f64 v[228:229], s[40:41], v[220:221], v[226:227]
	v_add_f64 v[10:11], v[224:225], v[10:11]
	v_fmac_f64_e32 v[226:227], s[18:19], v[220:221]
	v_mul_f64 v[224:225], v[222:223], s[38:39]
	v_add_f64 v[14:15], v[226:227], v[14:15]
	v_fma_f64 v[226:227], s[28:29], v[6:7], v[224:225]
	v_add_f64 v[20:21], v[226:227], v[20:21]
	v_mul_f64 v[226:227], v[8:9], s[28:29]
	v_fma_f64 v[224:225], v[6:7], s[28:29], -v[224:225]
	v_add_f64 v[16:17], v[228:229], v[16:17]
	v_fma_f64 v[228:229], s[26:27], v[220:221], v[226:227]
	v_add_f64 v[18:19], v[224:225], v[18:19]
	v_fmac_f64_e32 v[226:227], s[38:39], v[220:221]
	v_mul_f64 v[224:225], v[222:223], s[42:43]
	v_add_f64 v[22:23], v[226:227], v[22:23]
	v_fma_f64 v[226:227], s[22:23], v[6:7], v[224:225]
	v_add_f64 v[28:29], v[226:227], v[28:29]
	v_mul_f64 v[226:227], v[8:9], s[22:23]
	v_fma_f64 v[224:225], v[6:7], s[22:23], -v[224:225]
	v_add_f64 v[24:25], v[228:229], v[24:25]
	;; [unrolled: 10-line block ×3, first 2 shown]
	v_fma_f64 v[228:229], s[30:31], v[220:221], v[226:227]
	v_add_f64 v[34:35], v[224:225], v[34:35]
	v_fmac_f64_e32 v[226:227], s[4:5], v[220:221]
	v_mul_f64 v[224:225], v[222:223], s[46:47]
	v_add_f64 v[38:39], v[226:227], v[38:39]
	v_fma_f64 v[226:227], s[36:37], v[6:7], v[224:225]
	v_add_f64 v[44:45], v[226:227], v[44:45]
	v_mul_f64 v[226:227], v[8:9], s[36:37]
	v_add_f64 v[40:41], v[228:229], v[40:41]
	v_fma_f64 v[228:229], s[34:35], v[220:221], v[226:227]
	v_fmac_f64_e32 v[226:227], s[46:47], v[220:221]
	v_mul_f64 v[8:9], v[8:9], s[16:17]
	v_fma_f64 v[224:225], v[6:7], s[36:37], -v[224:225]
	v_add_f64 v[46:47], v[226:227], v[46:47]
	v_mul_f64 v[222:223], v[222:223], s[44:45]
	v_fma_f64 v[226:227], s[14:15], v[220:221], v[8:9]
	v_fmac_f64_e32 v[8:9], s[44:45], v[220:221]
	v_add_f64 v[42:43], v[224:225], v[42:43]
	v_fma_f64 v[224:225], s[16:17], v[6:7], v[222:223]
	v_fma_f64 v[6:7], v[6:7], s[16:17], -v[222:223]
	v_add_f64 v[2:3], v[8:9], v[2:3]
	v_add_f64 v[8:9], v[214:215], v[218:219]
	v_add_f64 v[214:215], v[214:215], -v[218:219]
	v_add_f64 v[4:5], v[6:7], v[4:5]
	v_add_f64 v[6:7], v[212:213], v[216:217]
	v_add_f64 v[212:213], v[212:213], -v[216:217]
	v_mul_f64 v[216:217], v[214:215], s[26:27]
	v_fma_f64 v[218:219], s[28:29], v[6:7], v[216:217]
	v_add_f64 v[12:13], v[218:219], v[12:13]
	v_mul_f64 v[218:219], v[8:9], s[28:29]
	v_fma_f64 v[216:217], v[6:7], s[28:29], -v[216:217]
	v_fma_f64 v[220:221], s[38:39], v[212:213], v[218:219]
	v_add_f64 v[10:11], v[216:217], v[10:11]
	v_fmac_f64_e32 v[218:219], s[26:27], v[212:213]
	v_mul_f64 v[216:217], v[214:215], s[30:31]
	v_add_f64 v[14:15], v[218:219], v[14:15]
	v_fma_f64 v[218:219], s[12:13], v[6:7], v[216:217]
	v_add_f64 v[20:21], v[218:219], v[20:21]
	v_mul_f64 v[218:219], v[8:9], s[12:13]
	v_fma_f64 v[216:217], v[6:7], s[12:13], -v[216:217]
	v_add_f64 v[16:17], v[220:221], v[16:17]
	v_fma_f64 v[220:221], s[4:5], v[212:213], v[218:219]
	v_add_f64 v[18:19], v[216:217], v[18:19]
	v_fmac_f64_e32 v[218:219], s[30:31], v[212:213]
	v_mul_f64 v[216:217], v[214:215], s[14:15]
	v_add_f64 v[22:23], v[218:219], v[22:23]
	v_fma_f64 v[218:219], s[16:17], v[6:7], v[216:217]
	v_add_f64 v[28:29], v[218:219], v[28:29]
	v_mul_f64 v[218:219], v[8:9], s[16:17]
	v_fma_f64 v[216:217], v[6:7], s[16:17], -v[216:217]
	v_add_f64 v[24:25], v[220:221], v[24:25]
	;; [unrolled: 10-line block ×3, first 2 shown]
	v_fma_f64 v[220:221], s[34:35], v[212:213], v[218:219]
	v_add_f64 v[34:35], v[216:217], v[34:35]
	v_fmac_f64_e32 v[218:219], s[46:47], v[212:213]
	v_mul_f64 v[216:217], v[214:215], s[42:43]
	v_add_f64 v[232:233], v[232:233], v[238:239]
	v_add_f64 v[38:39], v[218:219], v[38:39]
	v_fma_f64 v[218:219], s[22:23], v[6:7], v[216:217]
	v_fma_f64 v[216:217], v[6:7], s[22:23], -v[216:217]
	v_mul_f64 v[214:215], v[214:215], s[18:19]
	v_add_f64 v[240:241], v[240:241], v[254:255]
	v_add_f64 v[224:225], v[224:225], v[232:233]
	;; [unrolled: 1-line block ×3, first 2 shown]
	v_mul_f64 v[218:219], v[8:9], s[22:23]
	v_add_f64 v[42:43], v[216:217], v[42:43]
	v_fma_f64 v[216:217], s[24:25], v[6:7], v[214:215]
	v_mul_f64 v[8:9], v[8:9], s[24:25]
	v_add_f64 v[250:251], v[202:203], -v[210:211]
	v_add_f64 v[236:237], v[248:249], v[236:237]
	v_add_f64 v[234:235], v[234:235], v[240:241]
	;; [unrolled: 1-line block ×3, first 2 shown]
	v_fma_f64 v[216:217], s[40:41], v[212:213], v[8:9]
	v_fmac_f64_e32 v[8:9], s[18:19], v[212:213]
	v_add_f64 v[244:245], v[200:201], v[208:209]
	v_add_f64 v[248:249], v[200:201], -v[208:209]
	v_mul_f64 v[200:201], v[250:251], s[34:35]
	v_add_f64 v[8:9], v[8:9], v[2:3]
	v_add_f64 v[246:247], v[202:203], v[210:211]
	v_fma_f64 v[2:3], s[36:37], v[244:245], v[200:201]
	v_fma_f64 v[6:7], v[6:7], s[24:25], -v[214:215]
	v_add_f64 v[2:3], v[2:3], v[12:13]
	v_mul_f64 v[12:13], v[246:247], s[36:37]
	v_add_f64 v[6:7], v[6:7], v[4:5]
	v_fma_f64 v[4:5], s[46:47], v[248:249], v[12:13]
	v_add_f64 v[4:5], v[4:5], v[16:17]
	v_fma_f64 v[16:17], v[244:245], s[36:37], -v[200:201]
	v_add_f64 v[200:201], v[16:17], v[10:11]
	v_fmac_f64_e32 v[12:13], s[34:35], v[248:249]
	v_mul_f64 v[10:11], v[250:251], s[42:43]
	v_add_f64 v[202:203], v[12:13], v[14:15]
	v_fma_f64 v[12:13], s[22:23], v[244:245], v[10:11]
	v_add_f64 v[208:209], v[12:13], v[20:21]
	v_mul_f64 v[12:13], v[246:247], s[22:23]
	v_fma_f64 v[10:11], v[244:245], s[22:23], -v[10:11]
	v_add_f64 v[40:41], v[220:221], v[40:41]
	v_fma_f64 v[220:221], s[20:21], v[212:213], v[218:219]
	v_fmac_f64_e32 v[218:219], s[42:43], v[212:213]
	v_fma_f64 v[14:15], s[20:21], v[248:249], v[12:13]
	v_add_f64 v[212:213], v[10:11], v[18:19]
	v_fmac_f64_e32 v[12:13], s[42:43], v[248:249]
	v_mul_f64 v[10:11], v[250:251], s[26:27]
	v_add_f64 v[236:237], v[242:243], v[236:237]
	v_add_f64 v[226:227], v[226:227], v[234:235]
	;; [unrolled: 1-line block ×3, first 2 shown]
	v_fma_f64 v[12:13], s[28:29], v[244:245], v[10:11]
	v_add_f64 v[228:229], v[228:229], v[236:237]
	v_add_f64 v[242:243], v[216:217], v[226:227]
	;; [unrolled: 1-line block ×3, first 2 shown]
	v_mul_f64 v[12:13], v[246:247], s[28:29]
	v_fma_f64 v[10:11], v[244:245], s[28:29], -v[10:11]
	v_add_f64 v[234:235], v[220:221], v[228:229]
	v_add_f64 v[210:211], v[14:15], v[24:25]
	v_fma_f64 v[14:15], s[38:39], v[248:249], v[12:13]
	v_add_f64 v[220:221], v[10:11], v[26:27]
	v_fmac_f64_e32 v[12:13], s[26:27], v[248:249]
	v_mul_f64 v[10:11], v[250:251], s[44:45]
	v_add_f64 v[222:223], v[12:13], v[30:31]
	v_fma_f64 v[12:13], s[16:17], v[244:245], v[10:11]
	v_add_f64 v[224:225], v[12:13], v[36:37]
	v_mul_f64 v[12:13], v[246:247], s[16:17]
	v_fma_f64 v[10:11], v[244:245], s[16:17], -v[10:11]
	v_add_f64 v[46:47], v[218:219], v[46:47]
	v_add_f64 v[218:219], v[14:15], v[32:33]
	v_fma_f64 v[14:15], s[14:15], v[248:249], v[12:13]
	v_add_f64 v[228:229], v[10:11], v[34:35]
	v_fmac_f64_e32 v[12:13], s[44:45], v[248:249]
	v_mul_f64 v[10:11], v[250:251], s[18:19]
	v_add_f64 v[230:231], v[12:13], v[38:39]
	v_fma_f64 v[12:13], s[24:25], v[244:245], v[10:11]
	v_add_f64 v[232:233], v[12:13], v[44:45]
	v_mul_f64 v[12:13], v[246:247], s[24:25]
	v_fma_f64 v[10:11], v[244:245], s[24:25], -v[10:11]
	v_add_f64 v[226:227], v[14:15], v[40:41]
	v_fma_f64 v[14:15], s[40:41], v[248:249], v[12:13]
	v_add_f64 v[236:237], v[10:11], v[42:43]
	v_fmac_f64_e32 v[12:13], s[18:19], v[248:249]
	v_mul_f64 v[10:11], v[250:251], s[30:31]
	v_add_f64 v[238:239], v[12:13], v[46:47]
	v_fma_f64 v[12:13], s[12:13], v[244:245], v[10:11]
	v_add_f64 v[240:241], v[12:13], v[240:241]
	v_mul_f64 v[12:13], v[246:247], s[12:13]
	v_add_f64 v[234:235], v[14:15], v[234:235]
	v_fma_f64 v[14:15], s[4:5], v[248:249], v[12:13]
	v_fma_f64 v[10:11], v[244:245], s[12:13], -v[10:11]
	v_fmac_f64_e32 v[12:13], s[30:31], v[248:249]
	v_add_f64 v[242:243], v[14:15], v[242:243]
	v_add_f64 v[244:245], v[10:11], v[6:7]
	;; [unrolled: 1-line block ×3, first 2 shown]
	s_barrier
	ds_write_b128 v0, v[204:207]
	ds_write_b128 v0, v[2:5] offset:16
	ds_write_b128 v0, v[208:211] offset:32
	;; [unrolled: 1-line block ×12, first 2 shown]
	s_waitcnt lgkmcnt(0)
	s_barrier
	ds_read_b128 v[212:215], v253
	ds_read_b128 v[248:251], v253 offset:8112
	ds_read_b128 v[244:247], v253 offset:16224
	;; [unrolled: 1-line block ×11, first 2 shown]
	s_and_saveexec_b64 s[2:3], s[0:1]
	s_cbranch_execz .LBB0_11
; %bb.10:
	ds_read_b128 v[200:203], v253 offset:7488
	ds_read_b128 v[192:195], v253 offset:15600
	;; [unrolled: 1-line block ×4, first 2 shown]
.LBB0_11:
	s_or_b64 exec, exec, s[2:3]
	s_waitcnt lgkmcnt(10)
	v_mul_f64 v[0:1], v[62:63], v[250:251]
	v_mul_f64 v[2:3], v[62:63], v[248:249]
	s_waitcnt lgkmcnt(9)
	v_mul_f64 v[4:5], v[58:59], v[246:247]
	v_mul_f64 v[6:7], v[58:59], v[244:245]
	;; [unrolled: 3-line block ×3, first 2 shown]
	v_fmac_f64_e32 v[0:1], v[60:61], v[248:249]
	v_fma_f64 v[2:3], v[60:61], v[250:251], -v[2:3]
	v_fmac_f64_e32 v[4:5], v[56:57], v[244:245]
	v_fma_f64 v[6:7], v[56:57], v[246:247], -v[6:7]
	;; [unrolled: 2-line block ×3, first 2 shown]
	s_waitcnt lgkmcnt(6)
	v_mul_f64 v[12:13], v[74:75], v[238:239]
	v_mul_f64 v[14:15], v[74:75], v[236:237]
	s_waitcnt lgkmcnt(5)
	v_mul_f64 v[16:17], v[70:71], v[242:243]
	v_mul_f64 v[18:19], v[70:71], v[240:241]
	s_waitcnt lgkmcnt(4)
	v_mul_f64 v[22:23], v[66:67], v[220:221]
	v_add_f64 v[4:5], v[212:213], -v[4:5]
	v_add_f64 v[6:7], v[214:215], -v[6:7]
	;; [unrolled: 1-line block ×4, first 2 shown]
	v_fmac_f64_e32 v[12:13], v[72:73], v[236:237]
	v_fma_f64 v[14:15], v[72:73], v[238:239], -v[14:15]
	v_fmac_f64_e32 v[16:17], v[68:69], v[240:241]
	v_fma_f64 v[18:19], v[68:69], v[242:243], -v[18:19]
	v_mul_f64 v[20:21], v[66:67], v[222:223]
	v_fma_f64 v[22:23], v[64:65], v[222:223], -v[22:23]
	s_waitcnt lgkmcnt(1)
	v_mul_f64 v[28:29], v[78:79], v[230:231]
	v_mul_f64 v[30:31], v[78:79], v[228:229]
	v_add_f64 v[72:73], v[4:5], v[10:11]
	v_add_f64 v[74:75], v[6:7], -v[8:9]
	v_fmac_f64_e32 v[20:21], v[64:65], v[220:221]
	v_mul_f64 v[26:27], v[86:87], v[232:233]
	v_fmac_f64_e32 v[28:29], v[76:77], v[228:229]
	v_fma_f64 v[30:31], v[76:77], v[230:231], -v[30:31]
	s_waitcnt lgkmcnt(0)
	v_mul_f64 v[34:35], v[82:83], v[216:217]
	v_mul_f64 v[44:45], v[90:91], v[134:135]
	;; [unrolled: 1-line block ×3, first 2 shown]
	v_fma_f64 v[52:53], v[212:213], 2.0, -v[4:5]
	v_fma_f64 v[54:55], v[214:215], 2.0, -v[6:7]
	;; [unrolled: 1-line block ×4, first 2 shown]
	v_add_f64 v[4:5], v[208:209], -v[16:17]
	v_add_f64 v[6:7], v[210:211], -v[18:19]
	;; [unrolled: 1-line block ×3, first 2 shown]
	v_mul_f64 v[24:25], v[86:87], v[234:235]
	v_fma_f64 v[26:27], v[84:85], v[234:235], -v[26:27]
	v_mul_f64 v[32:33], v[82:83], v[218:219]
	v_fma_f64 v[34:35], v[80:81], v[218:219], -v[34:35]
	v_mul_f64 v[40:41], v[94:95], v[198:199]
	v_mul_f64 v[42:43], v[94:95], v[196:197]
	v_fmac_f64_e32 v[44:45], v[88:89], v[132:133]
	v_fma_f64 v[46:47], v[88:89], v[134:135], -v[46:47]
	v_fma_f64 v[2:3], v[2:3], 2.0, -v[10:11]
	v_fma_f64 v[10:11], v[210:211], 2.0, -v[6:7]
	v_add_f64 v[16:17], v[12:13], -v[20:21]
	v_fma_f64 v[14:15], v[14:15], 2.0, -v[18:19]
	v_add_f64 v[88:89], v[4:5], v[18:19]
	v_fmac_f64_e32 v[24:25], v[84:85], v[232:233]
	v_fmac_f64_e32 v[32:33], v[80:81], v[216:217]
	v_mul_f64 v[36:37], v[98:99], v[194:195]
	v_mul_f64 v[38:39], v[98:99], v[192:193]
	v_fmac_f64_e32 v[40:41], v[92:93], v[196:197]
	v_fma_f64 v[42:43], v[92:93], v[198:199], -v[42:43]
	v_fma_f64 v[0:1], v[0:1], 2.0, -v[8:9]
	v_fma_f64 v[8:9], v[208:209], 2.0, -v[4:5]
	;; [unrolled: 1-line block ×3, first 2 shown]
	v_add_f64 v[82:83], v[10:11], -v[14:15]
	v_add_f64 v[90:91], v[6:7], -v[16:17]
	v_fma_f64 v[92:93], v[4:5], 2.0, -v[88:89]
	v_add_f64 v[4:5], v[204:205], -v[28:29]
	v_add_f64 v[14:15], v[26:27], -v[34:35]
	v_fmac_f64_e32 v[36:37], v[96:97], v[192:193]
	v_fma_f64 v[38:39], v[96:97], v[194:195], -v[38:39]
	v_add_f64 v[80:81], v[8:9], -v[12:13]
	v_fma_f64 v[94:95], v[6:7], 2.0, -v[90:91]
	v_add_f64 v[6:7], v[206:207], -v[30:31]
	v_add_f64 v[12:13], v[24:25], -v[32:33]
	v_add_f64 v[192:193], v[4:5], v[14:15]
	v_fma_f64 v[84:85], v[8:9], 2.0, -v[80:81]
	v_fma_f64 v[86:87], v[10:11], 2.0, -v[82:83]
	;; [unrolled: 1-line block ×6, first 2 shown]
	v_add_f64 v[194:195], v[6:7], -v[12:13]
	v_fma_f64 v[196:197], v[4:5], 2.0, -v[192:193]
	v_add_f64 v[4:5], v[200:201], -v[40:41]
	v_add_f64 v[14:15], v[38:39], -v[46:47]
	;; [unrolled: 1-line block ×6, first 2 shown]
	v_fma_f64 v[198:199], v[6:7], 2.0, -v[194:195]
	v_add_f64 v[6:7], v[202:203], -v[42:43]
	v_add_f64 v[12:13], v[36:37], -v[44:45]
	v_add_f64 v[64:65], v[4:5], v[14:15]
	v_fma_f64 v[68:69], v[52:53], 2.0, -v[0:1]
	v_fma_f64 v[70:71], v[54:55], 2.0, -v[2:3]
	;; [unrolled: 1-line block ×9, first 2 shown]
	v_accvgpr_read_b32 v4, a52
	v_add_f64 v[60:61], v[8:9], -v[16:17]
	v_add_f64 v[62:63], v[10:11], -v[18:19]
	;; [unrolled: 1-line block ×3, first 2 shown]
	s_barrier
	ds_write_b128 v4, v[68:71]
	ds_write_b128 v4, v[76:79] offset:208
	ds_write_b128 v4, v[0:3] offset:416
	;; [unrolled: 1-line block ×3, first 2 shown]
	v_accvgpr_read_b32 v0, a53
	v_fma_f64 v[52:53], v[8:9], 2.0, -v[60:61]
	v_fma_f64 v[54:55], v[10:11], 2.0, -v[62:63]
	v_fma_f64 v[58:59], v[6:7], 2.0, -v[66:67]
	ds_write_b128 v0, v[84:87]
	ds_write_b128 v0, v[92:95] offset:208
	ds_write_b128 v0, v[80:83] offset:416
	;; [unrolled: 1-line block ×3, first 2 shown]
	v_accvgpr_read_b32 v0, a54
	ds_write_b128 v0, v[132:135]
	ds_write_b128 v0, v[196:199] offset:208
	ds_write_b128 v0, v[96:99] offset:416
	;; [unrolled: 1-line block ×3, first 2 shown]
	s_and_saveexec_b64 s[2:3], s[0:1]
	s_cbranch_execz .LBB0_13
; %bb.12:
	v_accvgpr_read_b32 v0, a1
	v_accvgpr_read_b32 v1, a3
	v_mad_legacy_u16 v0, v0, 52, v1
	v_lshlrev_b32_e32 v0, 4, v0
	ds_write_b128 v0, v[52:55]
	ds_write_b128 v0, v[56:59] offset:208
	ds_write_b128 v0, v[60:63] offset:416
	ds_write_b128 v0, v[64:67] offset:624
.LBB0_13:
	s_or_b64 exec, exec, s[2:3]
	s_waitcnt lgkmcnt(0)
	s_barrier
	ds_read_b128 v[76:79], v253
	ds_read_b128 v[72:75], v253 offset:2496
	ds_read_b128 v[196:199], v253 offset:10816
	;; [unrolled: 1-line block ×11, first 2 shown]
	s_and_saveexec_b64 s[0:1], vcc
	s_cbranch_execz .LBB0_15
; %bb.14:
	ds_read_b128 v[52:55], v253 offset:9984
	ds_read_b128 v[56:59], v253 offset:20800
	;; [unrolled: 1-line block ×3, first 2 shown]
.LBB0_15:
	s_or_b64 exec, exec, s[0:1]
	s_waitcnt lgkmcnt(9)
	v_mul_f64 v[0:1], v[114:115], v[196:197]
	v_fma_f64 v[8:9], v[112:113], v[198:199], -v[0:1]
	s_waitcnt lgkmcnt(7)
	v_mul_f64 v[0:1], v[110:111], v[192:193]
	v_fma_f64 v[12:13], v[108:109], v[194:195], -v[0:1]
	v_mul_f64 v[0:1], v[122:123], v[132:133]
	v_fma_f64 v[16:17], v[120:121], v[134:135], -v[0:1]
	s_waitcnt lgkmcnt(6)
	v_mul_f64 v[0:1], v[118:119], v[92:93]
	v_fma_f64 v[20:21], v[116:117], v[94:95], -v[0:1]
	s_waitcnt lgkmcnt(3)
	v_mul_f64 v[0:1], v[142:143], v[96:97]
	v_mul_f64 v[6:7], v[114:115], v[198:199]
	v_mul_f64 v[10:11], v[110:111], v[194:195]
	v_fma_f64 v[24:25], v[140:141], v[98:99], -v[0:1]
	s_waitcnt lgkmcnt(1)
	v_mul_f64 v[0:1], v[138:139], v[88:89]
	v_fmac_f64_e32 v[6:7], v[112:113], v[196:197]
	v_fmac_f64_e32 v[10:11], v[108:109], v[192:193]
	v_fma_f64 v[28:29], v[136:137], v[90:91], -v[0:1]
	v_mul_f64 v[0:1], v[130:131], v[84:85]
	v_fma_f64 v[32:33], v[128:129], v[86:87], -v[0:1]
	s_waitcnt lgkmcnt(0)
	v_mul_f64 v[0:1], v[126:127], v[80:81]
	v_add_f64 v[2:3], v[6:7], v[10:11]
	s_mov_b32 s0, 0xe8584caa
	v_fma_f64 v[36:37], v[124:125], v[82:83], -v[0:1]
	v_add_f64 v[0:1], v[76:77], v[6:7]
	v_fmac_f64_e32 v[76:77], -0.5, v[2:3]
	v_add_f64 v[2:3], v[8:9], -v[12:13]
	s_mov_b32 s1, 0xbfebb67a
	s_mov_b32 s3, 0x3febb67a
	;; [unrolled: 1-line block ×3, first 2 shown]
	v_mul_f64 v[14:15], v[122:123], v[134:135]
	v_fma_f64 v[4:5], s[0:1], v[2:3], v[76:77]
	v_fmac_f64_e32 v[76:77], s[2:3], v[2:3]
	v_add_f64 v[2:3], v[78:79], v[8:9]
	v_add_f64 v[8:9], v[8:9], v[12:13]
	v_fmac_f64_e32 v[14:15], v[120:121], v[132:133]
	v_mul_f64 v[18:19], v[118:119], v[94:95]
	v_fmac_f64_e32 v[78:79], -0.5, v[8:9]
	v_add_f64 v[8:9], v[6:7], -v[10:11]
	v_fmac_f64_e32 v[18:19], v[116:117], v[92:93]
	v_mul_f64 v[34:35], v[126:127], v[82:83]
	v_fma_f64 v[6:7], s[2:3], v[8:9], v[78:79]
	v_fmac_f64_e32 v[78:79], s[0:1], v[8:9]
	v_add_f64 v[8:9], v[72:73], v[14:15]
	v_fmac_f64_e32 v[34:35], v[124:125], v[80:81]
	v_add_f64 v[80:81], v[8:9], v[18:19]
	v_add_f64 v[8:9], v[14:15], v[18:19]
	v_mul_f64 v[30:31], v[130:131], v[86:87]
	v_fmac_f64_e32 v[72:73], -0.5, v[8:9]
	v_add_f64 v[8:9], v[16:17], -v[20:21]
	v_fmac_f64_e32 v[30:31], v[128:129], v[84:85]
	v_fma_f64 v[84:85], s[0:1], v[8:9], v[72:73]
	v_fmac_f64_e32 v[72:73], s[2:3], v[8:9]
	v_add_f64 v[8:9], v[74:75], v[16:17]
	v_mul_f64 v[22:23], v[142:143], v[98:99]
	v_add_f64 v[82:83], v[8:9], v[20:21]
	v_add_f64 v[8:9], v[16:17], v[20:21]
	v_fmac_f64_e32 v[22:23], v[140:141], v[96:97]
	v_mul_f64 v[26:27], v[138:139], v[90:91]
	v_fmac_f64_e32 v[74:75], -0.5, v[8:9]
	v_add_f64 v[8:9], v[14:15], -v[18:19]
	v_fmac_f64_e32 v[26:27], v[136:137], v[88:89]
	v_fma_f64 v[86:87], s[2:3], v[8:9], v[74:75]
	v_fmac_f64_e32 v[74:75], s[0:1], v[8:9]
	v_add_f64 v[8:9], v[68:69], v[22:23]
	v_add_f64 v[88:89], v[8:9], v[26:27]
	v_add_f64 v[8:9], v[22:23], v[26:27]
	v_fmac_f64_e32 v[68:69], -0.5, v[8:9]
	v_add_f64 v[8:9], v[24:25], -v[28:29]
	v_fma_f64 v[92:93], s[0:1], v[8:9], v[68:69]
	v_fmac_f64_e32 v[68:69], s[2:3], v[8:9]
	v_add_f64 v[8:9], v[70:71], v[24:25]
	v_add_f64 v[90:91], v[8:9], v[28:29]
	v_add_f64 v[8:9], v[24:25], v[28:29]
	v_fmac_f64_e32 v[70:71], -0.5, v[8:9]
	v_add_f64 v[8:9], v[22:23], -v[26:27]
	;; [unrolled: 7-line block ×4, first 2 shown]
	v_add_f64 v[0:1], v[0:1], v[10:11]
	v_add_f64 v[2:3], v[2:3], v[12:13]
	v_fma_f64 v[110:111], s[2:3], v[8:9], v[66:67]
	v_fmac_f64_e32 v[66:67], s[0:1], v[8:9]
	v_accvgpr_read_b32 v8, a56
	s_barrier
	ds_write_b128 v8, v[0:3]
	ds_write_b128 v8, v[4:7] offset:832
	ds_write_b128 v8, v[76:79] offset:1664
	v_accvgpr_read_b32 v0, a57
	ds_write_b128 v0, v[80:83]
	ds_write_b128 v0, v[84:87] offset:832
	ds_write_b128 v0, v[72:75] offset:1664
	v_accvgpr_read_b32 v0, a58
	;; [unrolled: 4-line block ×3, first 2 shown]
	ds_write_b128 v0, v[96:99]
	ds_write_b128 v0, v[108:111] offset:832
	ds_write_b128 v0, v[64:67] offset:1664
	s_and_saveexec_b64 s[4:5], vcc
	s_cbranch_execz .LBB0_17
; %bb.16:
	v_mul_f64 v[0:1], v[106:107], v[56:57]
	v_fma_f64 v[4:5], v[104:105], v[58:59], -v[0:1]
	v_mul_f64 v[0:1], v[102:103], v[60:61]
	v_fma_f64 v[8:9], v[100:101], v[62:63], -v[0:1]
	v_mul_f64 v[10:11], v[106:107], v[58:59]
	v_mul_f64 v[12:13], v[102:103], v[62:63]
	v_add_f64 v[0:1], v[8:9], v[4:5]
	v_fmac_f64_e32 v[10:11], v[104:105], v[56:57]
	v_fmac_f64_e32 v[12:13], v[100:101], v[60:61]
	v_fma_f64 v[2:3], -0.5, v[0:1], v[54:55]
	v_add_f64 v[0:1], v[10:11], -v[12:13]
	v_fma_f64 v[6:7], s[0:1], v[0:1], v[2:3]
	v_fmac_f64_e32 v[2:3], s[2:3], v[0:1]
	v_add_f64 v[0:1], v[54:55], v[4:5]
	v_add_f64 v[54:55], v[8:9], v[0:1]
	;; [unrolled: 1-line block ×3, first 2 shown]
	v_fma_f64 v[0:1], -0.5, v[0:1], v[52:53]
	v_add_f64 v[8:9], v[4:5], -v[8:9]
	v_fma_f64 v[4:5], s[2:3], v[8:9], v[0:1]
	v_fmac_f64_e32 v[0:1], s[0:1], v[8:9]
	v_add_f64 v[8:9], v[52:53], v[10:11]
	v_add_f64 v[52:53], v[12:13], v[8:9]
	v_accvgpr_read_b32 v8, a55
	ds_write_b128 v8, v[52:55] offset:29952
	ds_write_b128 v8, v[0:3] offset:30784
	;; [unrolled: 1-line block ×3, first 2 shown]
.LBB0_17:
	s_or_b64 exec, exec, s[4:5]
	s_waitcnt lgkmcnt(0)
	s_barrier
	ds_read_b128 v[56:59], v253
	ds_read_b128 v[0:3], v253 offset:2496
	ds_read_b128 v[4:7], v253 offset:4992
	;; [unrolled: 1-line block ×12, first 2 shown]
	s_waitcnt lgkmcnt(11)
	v_mul_f64 v[8:9], v[170:171], v[2:3]
	v_fmac_f64_e32 v[8:9], v[168:169], v[0:1]
	v_mul_f64 v[0:1], v[170:171], v[0:1]
	v_fma_f64 v[0:1], v[168:169], v[2:3], -v[0:1]
	s_waitcnt lgkmcnt(10)
	v_mul_f64 v[2:3], v[154:155], v[6:7]
	v_fmac_f64_e32 v[2:3], v[152:153], v[4:5]
	v_mul_f64 v[4:5], v[154:155], v[4:5]
	v_fma_f64 v[4:5], v[152:153], v[6:7], -v[4:5]
	s_waitcnt lgkmcnt(9)
	v_mul_f64 v[6:7], v[150:151], v[52:53]
	v_add_f64 v[18:19], v[58:59], v[0:1]
	v_mul_f64 v[88:89], v[150:151], v[54:55]
	v_fma_f64 v[90:91], v[148:149], v[54:55], -v[6:7]
	s_waitcnt lgkmcnt(8)
	v_mul_f64 v[6:7], v[146:147], v[64:65]
	v_add_f64 v[16:17], v[56:57], v[8:9]
	v_add_f64 v[18:19], v[18:19], v[4:5]
	v_fmac_f64_e32 v[88:89], v[148:149], v[52:53]
	v_mul_f64 v[80:81], v[146:147], v[66:67]
	v_fma_f64 v[82:83], v[144:145], v[66:67], -v[6:7]
	s_waitcnt lgkmcnt(7)
	v_mul_f64 v[6:7], v[186:187], v[68:69]
	v_add_f64 v[16:17], v[16:17], v[2:3]
	v_add_f64 v[18:19], v[18:19], v[90:91]
	v_fmac_f64_e32 v[80:81], v[144:145], v[64:65]
	;; [unrolled: 7-line block ×8, first 2 shown]
	v_mul_f64 v[6:7], v[178:179], v[106:107]
	v_fma_f64 v[10:11], v[176:177], v[106:107], -v[10:11]
	s_waitcnt lgkmcnt(0)
	v_mul_f64 v[14:15], v[174:175], v[108:109]
	v_add_f64 v[16:17], v[16:17], v[84:85]
	v_add_f64 v[18:19], v[18:19], v[94:95]
	v_accvgpr_read_b32 v112, a2
	v_fmac_f64_e32 v[6:7], v[176:177], v[104:105]
	v_mul_f64 v[12:13], v[174:175], v[110:111]
	v_fma_f64 v[14:15], v[172:173], v[110:111], -v[14:15]
	v_add_f64 v[16:17], v[16:17], v[92:93]
	v_add_f64 v[18:19], v[18:19], v[10:11]
	s_mov_b32 s20, 0xe00740e9
	s_mov_b32 s14, 0x1ea71119
	;; [unrolled: 1-line block ×6, first 2 shown]
	v_mad_u64_u32 v[60:61], s[0:1], s10, v112, 0
	v_fmac_f64_e32 v[12:13], v[172:173], v[108:109]
	v_add_f64 v[16:17], v[16:17], v[6:7]
	v_add_f64 v[54:55], v[18:19], v[14:15]
	;; [unrolled: 1-line block ×3, first 2 shown]
	s_mov_b32 s21, 0x3fec55a7
	s_mov_b32 s15, 0x3fe22d96
	;; [unrolled: 1-line block ×7, first 2 shown]
	v_add_f64 v[52:53], v[16:17], v[12:13]
	v_add_f64 v[16:17], v[8:9], v[12:13]
	v_add_f64 v[8:9], v[8:9], -v[12:13]
	s_mov_b32 s18, 0x4267c47c
	v_mul_f64 v[20:21], v[18:19], s[20:21]
	s_mov_b32 s12, 0x42a4c3d2
	v_mul_f64 v[28:29], v[18:19], s[14:15]
	;; [unrolled: 2-line block ×6, first 2 shown]
	s_mov_b32 s43, 0x3fcea1e5
	s_mov_b32 s42, s38
	v_add_f64 v[0:1], v[0:1], -v[14:15]
	s_mov_b32 s19, 0xbfddbe06
	s_mov_b32 s23, 0x3fddbe06
	;; [unrolled: 1-line block ×15, first 2 shown]
	v_fma_f64 v[106:107], s[42:43], v[8:9], v[18:19]
	v_fmac_f64_e32 v[18:19], s[38:39], v[8:9]
	v_mul_f64 v[12:13], v[0:1], s[18:19]
	v_fma_f64 v[22:23], s[22:23], v[8:9], v[20:21]
	v_fmac_f64_e32 v[20:21], s[18:19], v[8:9]
	v_mul_f64 v[24:25], v[0:1], s[12:13]
	;; [unrolled: 3-line block ×6, first 2 shown]
	v_add_f64 v[8:9], v[58:59], v[18:19]
	v_add_f64 v[18:19], v[4:5], v[10:11]
	v_add_f64 v[4:5], v[4:5], -v[10:11]
	v_fma_f64 v[14:15], s[20:21], v[16:17], v[12:13]
	v_fma_f64 v[12:13], v[16:17], s[20:21], -v[12:13]
	v_fma_f64 v[26:27], s[14:15], v[16:17], v[24:25]
	v_fma_f64 v[24:25], v[16:17], s[14:15], -v[24:25]
	;; [unrolled: 2-line block ×6, first 2 shown]
	v_add_f64 v[16:17], v[2:3], v[6:7]
	v_add_f64 v[2:3], v[2:3], -v[6:7]
	v_mul_f64 v[6:7], v[4:5], s[12:13]
	v_add_f64 v[14:15], v[56:57], v[14:15]
	v_fma_f64 v[10:11], s[14:15], v[16:17], v[6:7]
	v_add_f64 v[10:11], v[10:11], v[14:15]
	v_mul_f64 v[14:15], v[18:19], s[14:15]
	v_add_f64 v[12:13], v[56:57], v[12:13]
	v_add_f64 v[20:21], v[58:59], v[20:21]
	;; [unrolled: 1-line block ×12, first 2 shown]
	v_fma_f64 v[56:57], s[16:17], v[2:3], v[14:15]
	v_fma_f64 v[6:7], v[16:17], s[14:15], -v[6:7]
	v_fmac_f64_e32 v[14:15], s[12:13], v[2:3]
	v_add_f64 v[6:7], v[6:7], v[12:13]
	v_add_f64 v[12:13], v[14:15], v[20:21]
	v_mul_f64 v[14:15], v[4:5], s[24:25]
	v_fma_f64 v[20:21], s[26:27], v[16:17], v[14:15]
	v_add_f64 v[22:23], v[58:59], v[22:23]
	v_add_f64 v[20:21], v[20:21], v[26:27]
	v_mul_f64 v[26:27], v[18:19], s[26:27]
	v_add_f64 v[28:29], v[58:59], v[28:29]
	v_add_f64 v[22:23], v[56:57], v[22:23]
	v_fma_f64 v[56:57], s[28:29], v[2:3], v[26:27]
	v_fma_f64 v[14:15], v[16:17], s[26:27], -v[14:15]
	v_fmac_f64_e32 v[26:27], s[24:25], v[2:3]
	v_add_f64 v[14:15], v[14:15], v[24:25]
	v_add_f64 v[24:25], v[26:27], v[28:29]
	v_mul_f64 v[26:27], v[4:5], s[38:39]
	v_fma_f64 v[28:29], s[40:41], v[16:17], v[26:27]
	v_add_f64 v[30:31], v[58:59], v[30:31]
	v_add_f64 v[28:29], v[28:29], v[34:35]
	v_mul_f64 v[34:35], v[18:19], s[40:41]
	v_add_f64 v[36:37], v[58:59], v[36:37]
	v_add_f64 v[30:31], v[56:57], v[30:31]
	;; [unrolled: 12-line block ×3, first 2 shown]
	v_fma_f64 v[56:57], s[30:31], v[2:3], v[42:43]
	v_fma_f64 v[34:35], v[16:17], s[34:35], -v[34:35]
	v_fmac_f64_e32 v[42:43], s[36:37], v[2:3]
	v_add_f64 v[46:47], v[58:59], v[46:47]
	v_add_f64 v[34:35], v[34:35], v[40:41]
	;; [unrolled: 1-line block ×3, first 2 shown]
	v_mul_f64 v[42:43], v[4:5], s[4:5]
	v_add_f64 v[46:47], v[56:57], v[46:47]
	v_fma_f64 v[44:45], s[2:3], v[16:17], v[42:43]
	v_mul_f64 v[56:57], v[18:19], s[2:3]
	v_mul_f64 v[18:19], v[18:19], s[20:21]
	v_add_f64 v[44:45], v[44:45], v[98:99]
	v_fma_f64 v[42:43], v[16:17], s[2:3], -v[42:43]
	v_mul_f64 v[4:5], v[4:5], s[22:23]
	v_fma_f64 v[98:99], s[18:19], v[2:3], v[18:19]
	v_fmac_f64_e32 v[18:19], s[22:23], v[2:3]
	v_add_f64 v[102:103], v[58:59], v[102:103]
	v_add_f64 v[100:101], v[58:59], v[100:101]
	v_add_f64 v[106:107], v[58:59], v[106:107]
	v_fma_f64 v[58:59], s[0:1], v[2:3], v[56:57]
	v_add_f64 v[42:43], v[42:43], v[96:97]
	v_fmac_f64_e32 v[56:57], s[4:5], v[2:3]
	v_fma_f64 v[96:97], s[20:21], v[16:17], v[4:5]
	v_fma_f64 v[4:5], v[16:17], s[20:21], -v[4:5]
	v_add_f64 v[2:3], v[18:19], v[8:9]
	v_add_f64 v[18:19], v[90:91], -v[94:95]
	v_add_f64 v[0:1], v[4:5], v[0:1]
	v_add_f64 v[4:5], v[88:89], v[92:93]
	v_add_f64 v[16:17], v[88:89], -v[92:93]
	v_mul_f64 v[88:89], v[18:19], s[0:1]
	v_add_f64 v[8:9], v[90:91], v[94:95]
	v_fma_f64 v[90:91], s[2:3], v[4:5], v[88:89]
	v_add_f64 v[10:11], v[90:91], v[10:11]
	v_mul_f64 v[90:91], v[8:9], s[2:3]
	v_fma_f64 v[88:89], v[4:5], s[2:3], -v[88:89]
	v_fma_f64 v[92:93], s[4:5], v[16:17], v[90:91]
	v_add_f64 v[6:7], v[88:89], v[6:7]
	v_fmac_f64_e32 v[90:91], s[0:1], v[16:17]
	v_mul_f64 v[88:89], v[18:19], s[38:39]
	v_add_f64 v[12:13], v[90:91], v[12:13]
	v_fma_f64 v[90:91], s[40:41], v[4:5], v[88:89]
	v_add_f64 v[20:21], v[90:91], v[20:21]
	v_mul_f64 v[90:91], v[8:9], s[40:41]
	v_fma_f64 v[88:89], v[4:5], s[40:41], -v[88:89]
	v_add_f64 v[22:23], v[92:93], v[22:23]
	v_fma_f64 v[92:93], s[42:43], v[16:17], v[90:91]
	v_add_f64 v[14:15], v[88:89], v[14:15]
	v_fmac_f64_e32 v[90:91], s[38:39], v[16:17]
	v_mul_f64 v[88:89], v[18:19], s[28:29]
	v_add_f64 v[24:25], v[90:91], v[24:25]
	v_fma_f64 v[90:91], s[26:27], v[4:5], v[88:89]
	v_add_f64 v[28:29], v[90:91], v[28:29]
	v_mul_f64 v[90:91], v[8:9], s[26:27]
	v_fma_f64 v[88:89], v[4:5], s[26:27], -v[88:89]
	v_add_f64 v[30:31], v[92:93], v[30:31]
	v_fma_f64 v[92:93], s[24:25], v[16:17], v[90:91]
	v_add_f64 v[26:27], v[88:89], v[26:27]
	v_fmac_f64_e32 v[90:91], s[28:29], v[16:17]
	v_mul_f64 v[88:89], v[18:19], s[22:23]
	v_add_f64 v[32:33], v[90:91], v[32:33]
	v_fma_f64 v[90:91], s[20:21], v[4:5], v[88:89]
	v_add_f64 v[36:37], v[90:91], v[36:37]
	v_mul_f64 v[90:91], v[8:9], s[20:21]
	v_fma_f64 v[88:89], v[4:5], s[20:21], -v[88:89]
	v_add_f64 v[38:39], v[92:93], v[38:39]
	v_fma_f64 v[92:93], s[18:19], v[16:17], v[90:91]
	v_add_f64 v[34:35], v[88:89], v[34:35]
	v_fmac_f64_e32 v[90:91], s[22:23], v[16:17]
	v_mul_f64 v[88:89], v[18:19], s[12:13]
	v_add_f64 v[40:41], v[90:91], v[40:41]
	v_fma_f64 v[90:91], s[14:15], v[4:5], v[88:89]
	v_add_f64 v[44:45], v[90:91], v[44:45]
	v_mul_f64 v[90:91], v[8:9], s[14:15]
	v_fma_f64 v[88:89], v[4:5], s[14:15], -v[88:89]
	v_mul_f64 v[18:19], v[18:19], s[30:31]
	v_add_f64 v[56:57], v[56:57], v[100:101]
	v_add_f64 v[46:47], v[92:93], v[46:47]
	v_fma_f64 v[92:93], s[16:17], v[16:17], v[90:91]
	v_add_f64 v[42:43], v[88:89], v[42:43]
	v_fmac_f64_e32 v[90:91], s[12:13], v[16:17]
	v_fma_f64 v[88:89], s[34:35], v[4:5], v[18:19]
	v_mul_f64 v[8:9], v[8:9], s[34:35]
	v_fma_f64 v[4:5], v[4:5], s[34:35], -v[18:19]
	v_add_f64 v[18:19], v[82:83], -v[86:87]
	v_add_f64 v[56:57], v[90:91], v[56:57]
	v_fma_f64 v[90:91], s[36:37], v[16:17], v[8:9]
	v_add_f64 v[0:1], v[4:5], v[0:1]
	v_fmac_f64_e32 v[8:9], s[30:31], v[16:17]
	v_add_f64 v[4:5], v[80:81], v[84:85]
	v_add_f64 v[16:17], v[80:81], -v[84:85]
	v_mul_f64 v[80:81], v[18:19], s[24:25]
	v_add_f64 v[2:3], v[8:9], v[2:3]
	v_add_f64 v[8:9], v[82:83], v[86:87]
	v_fma_f64 v[82:83], s[26:27], v[4:5], v[80:81]
	v_add_f64 v[10:11], v[82:83], v[10:11]
	v_mul_f64 v[82:83], v[8:9], s[26:27]
	v_fma_f64 v[80:81], v[4:5], s[26:27], -v[80:81]
	v_fma_f64 v[84:85], s[28:29], v[16:17], v[82:83]
	v_add_f64 v[6:7], v[80:81], v[6:7]
	v_fmac_f64_e32 v[82:83], s[24:25], v[16:17]
	v_mul_f64 v[80:81], v[18:19], s[36:37]
	v_add_f64 v[12:13], v[82:83], v[12:13]
	v_fma_f64 v[82:83], s[34:35], v[4:5], v[80:81]
	v_add_f64 v[20:21], v[82:83], v[20:21]
	v_mul_f64 v[82:83], v[8:9], s[34:35]
	v_fma_f64 v[80:81], v[4:5], s[34:35], -v[80:81]
	v_add_f64 v[22:23], v[84:85], v[22:23]
	v_fma_f64 v[84:85], s[30:31], v[16:17], v[82:83]
	v_add_f64 v[14:15], v[80:81], v[14:15]
	v_fmac_f64_e32 v[82:83], s[36:37], v[16:17]
	v_mul_f64 v[80:81], v[18:19], s[22:23]
	v_add_f64 v[24:25], v[82:83], v[24:25]
	v_fma_f64 v[82:83], s[20:21], v[4:5], v[80:81]
	v_add_f64 v[28:29], v[82:83], v[28:29]
	v_mul_f64 v[82:83], v[8:9], s[20:21]
	v_fma_f64 v[80:81], v[4:5], s[20:21], -v[80:81]
	v_add_f64 v[30:31], v[84:85], v[30:31]
	;; [unrolled: 10-line block ×3, first 2 shown]
	v_fma_f64 v[84:85], s[4:5], v[16:17], v[82:83]
	v_add_f64 v[34:35], v[80:81], v[34:35]
	v_fmac_f64_e32 v[82:83], s[0:1], v[16:17]
	v_mul_f64 v[80:81], v[18:19], s[42:43]
	v_add_f64 v[40:41], v[82:83], v[40:41]
	v_fma_f64 v[82:83], s[40:41], v[4:5], v[80:81]
	v_add_f64 v[44:45], v[82:83], v[44:45]
	v_mul_f64 v[82:83], v[8:9], s[40:41]
	v_fma_f64 v[80:81], v[4:5], s[40:41], -v[80:81]
	v_mul_f64 v[18:19], v[18:19], s[16:17]
	v_add_f64 v[46:47], v[84:85], v[46:47]
	v_fma_f64 v[84:85], s[38:39], v[16:17], v[82:83]
	v_add_f64 v[42:43], v[80:81], v[42:43]
	v_fmac_f64_e32 v[82:83], s[42:43], v[16:17]
	v_fma_f64 v[80:81], s[14:15], v[4:5], v[18:19]
	v_mul_f64 v[8:9], v[8:9], s[14:15]
	v_fma_f64 v[4:5], v[4:5], s[14:15], -v[18:19]
	v_add_f64 v[18:19], v[74:75], -v[78:79]
	v_add_f64 v[56:57], v[82:83], v[56:57]
	v_fma_f64 v[82:83], s[12:13], v[16:17], v[8:9]
	v_add_f64 v[0:1], v[4:5], v[0:1]
	v_fmac_f64_e32 v[8:9], s[16:17], v[16:17]
	v_add_f64 v[4:5], v[72:73], v[76:77]
	v_add_f64 v[16:17], v[72:73], -v[76:77]
	v_mul_f64 v[72:73], v[18:19], s[30:31]
	v_add_f64 v[2:3], v[8:9], v[2:3]
	v_add_f64 v[8:9], v[74:75], v[78:79]
	v_fma_f64 v[74:75], s[34:35], v[4:5], v[72:73]
	v_add_f64 v[10:11], v[74:75], v[10:11]
	v_mul_f64 v[74:75], v[8:9], s[34:35]
	v_fma_f64 v[72:73], v[4:5], s[34:35], -v[72:73]
	v_fma_f64 v[76:77], s[36:37], v[16:17], v[74:75]
	v_add_f64 v[6:7], v[72:73], v[6:7]
	v_fmac_f64_e32 v[74:75], s[30:31], v[16:17]
	v_mul_f64 v[72:73], v[18:19], s[4:5]
	v_add_f64 v[12:13], v[74:75], v[12:13]
	v_fma_f64 v[74:75], s[2:3], v[4:5], v[72:73]
	v_add_f64 v[20:21], v[74:75], v[20:21]
	v_mul_f64 v[74:75], v[8:9], s[2:3]
	v_fma_f64 v[72:73], v[4:5], s[2:3], -v[72:73]
	v_add_f64 v[22:23], v[76:77], v[22:23]
	v_fma_f64 v[76:77], s[0:1], v[16:17], v[74:75]
	v_add_f64 v[14:15], v[72:73], v[14:15]
	v_fmac_f64_e32 v[74:75], s[4:5], v[16:17]
	v_mul_f64 v[72:73], v[18:19], s[12:13]
	v_add_f64 v[24:25], v[74:75], v[24:25]
	v_fma_f64 v[74:75], s[14:15], v[4:5], v[72:73]
	v_add_f64 v[28:29], v[74:75], v[28:29]
	v_mul_f64 v[74:75], v[8:9], s[14:15]
	v_fma_f64 v[72:73], v[4:5], s[14:15], -v[72:73]
	v_add_f64 v[30:31], v[76:77], v[30:31]
	v_fma_f64 v[76:77], s[16:17], v[16:17], v[74:75]
	v_add_f64 v[26:27], v[72:73], v[26:27]
	v_fmac_f64_e32 v[74:75], s[12:13], v[16:17]
	v_mul_f64 v[72:73], v[18:19], s[42:43]
	v_add_f64 v[32:33], v[74:75], v[32:33]
	v_fma_f64 v[74:75], s[40:41], v[4:5], v[72:73]
	v_add_f64 v[36:37], v[74:75], v[36:37]
	v_mul_f64 v[74:75], v[8:9], s[40:41]
	v_fma_f64 v[72:73], v[4:5], s[40:41], -v[72:73]
	v_add_f64 v[38:39], v[76:77], v[38:39]
	v_fma_f64 v[76:77], s[38:39], v[16:17], v[74:75]
	v_add_f64 v[34:35], v[72:73], v[34:35]
	v_fmac_f64_e32 v[74:75], s[42:43], v[16:17]
	v_mul_f64 v[72:73], v[18:19], s[22:23]
	v_add_f64 v[58:59], v[58:59], v[102:103]
	v_add_f64 v[40:41], v[74:75], v[40:41]
	v_fma_f64 v[74:75], s[20:21], v[4:5], v[72:73]
	v_add_f64 v[96:97], v[96:97], v[104:105]
	v_add_f64 v[98:99], v[98:99], v[106:107]
	;; [unrolled: 1-line block ×4, first 2 shown]
	v_mul_f64 v[74:75], v[8:9], s[20:21]
	v_add_f64 v[88:89], v[88:89], v[96:97]
	v_add_f64 v[90:91], v[90:91], v[98:99]
	v_add_f64 v[58:59], v[84:85], v[58:59]
	v_add_f64 v[46:47], v[76:77], v[46:47]
	v_fma_f64 v[76:77], s[18:19], v[16:17], v[74:75]
	v_fmac_f64_e32 v[74:75], s[22:23], v[16:17]
	v_mul_f64 v[18:19], v[18:19], s[24:25]
	v_add_f64 v[80:81], v[80:81], v[88:89]
	v_add_f64 v[82:83], v[82:83], v[90:91]
	;; [unrolled: 1-line block ×3, first 2 shown]
	v_fma_f64 v[58:59], v[4:5], s[20:21], -v[72:73]
	v_add_f64 v[90:91], v[74:75], v[56:57]
	v_fma_f64 v[56:57], s[26:27], v[4:5], v[18:19]
	v_mul_f64 v[8:9], v[8:9], s[26:27]
	v_fma_f64 v[4:5], v[4:5], s[26:27], -v[18:19]
	v_add_f64 v[100:101], v[66:67], -v[70:71]
	v_add_f64 v[92:93], v[56:57], v[80:81]
	v_fma_f64 v[56:57], s[28:29], v[16:17], v[8:9]
	v_add_f64 v[18:19], v[4:5], v[0:1]
	v_fmac_f64_e32 v[8:9], s[24:25], v[16:17]
	v_add_f64 v[16:17], v[64:65], v[68:69]
	v_mul_f64 v[4:5], v[100:101], s[38:39]
	v_add_f64 v[96:97], v[66:67], v[70:71]
	v_fma_f64 v[0:1], s[40:41], v[16:17], v[4:5]
	v_add_f64 v[98:99], v[64:65], -v[68:69]
	v_add_f64 v[0:1], v[0:1], v[10:11]
	v_mul_f64 v[10:11], v[96:97], s[40:41]
	v_add_f64 v[8:9], v[8:9], v[2:3]
	v_fma_f64 v[2:3], s[42:43], v[98:99], v[10:11]
	v_fma_f64 v[4:5], v[16:17], s[40:41], -v[4:5]
	v_fmac_f64_e32 v[10:11], s[38:39], v[98:99]
	v_add_f64 v[4:5], v[4:5], v[6:7]
	v_add_f64 v[6:7], v[10:11], v[12:13]
	v_mul_f64 v[10:11], v[100:101], s[22:23]
	v_fma_f64 v[12:13], s[20:21], v[16:17], v[10:11]
	v_add_f64 v[94:95], v[56:57], v[82:83]
	v_add_f64 v[56:57], v[12:13], v[20:21]
	v_mul_f64 v[12:13], v[96:97], s[20:21]
	v_fma_f64 v[10:11], v[16:17], s[20:21], -v[10:11]
	v_fma_f64 v[20:21], s[18:19], v[98:99], v[12:13]
	v_add_f64 v[64:65], v[10:11], v[14:15]
	v_fmac_f64_e32 v[12:13], s[22:23], v[98:99]
	v_mul_f64 v[10:11], v[100:101], s[30:31]
	v_add_f64 v[66:67], v[12:13], v[24:25]
	v_fma_f64 v[12:13], s[34:35], v[16:17], v[10:11]
	v_add_f64 v[68:69], v[12:13], v[28:29]
	v_mul_f64 v[12:13], v[96:97], s[34:35]
	v_fma_f64 v[10:11], v[16:17], s[34:35], -v[10:11]
	v_fma_f64 v[14:15], s[36:37], v[98:99], v[12:13]
	v_add_f64 v[72:73], v[10:11], v[26:27]
	v_fmac_f64_e32 v[12:13], s[30:31], v[98:99]
	v_mul_f64 v[10:11], v[100:101], s[16:17]
	v_add_f64 v[74:75], v[12:13], v[32:33]
	v_fma_f64 v[12:13], s[14:15], v[16:17], v[10:11]
	v_add_f64 v[76:77], v[12:13], v[36:37]
	v_mul_f64 v[12:13], v[96:97], s[14:15]
	v_fma_f64 v[10:11], v[16:17], s[14:15], -v[10:11]
	v_add_f64 v[70:71], v[14:15], v[38:39]
	v_fma_f64 v[14:15], s[12:13], v[98:99], v[12:13]
	v_add_f64 v[80:81], v[10:11], v[34:35]
	v_fmac_f64_e32 v[12:13], s[16:17], v[98:99]
	v_mul_f64 v[10:11], v[100:101], s[24:25]
	v_add_f64 v[82:83], v[12:13], v[40:41]
	v_fma_f64 v[12:13], s[26:27], v[16:17], v[10:11]
	v_add_f64 v[42:43], v[58:59], v[42:43]
	v_add_f64 v[84:85], v[12:13], v[44:45]
	v_mul_f64 v[12:13], v[96:97], s[26:27]
	v_fma_f64 v[10:11], v[16:17], s[26:27], -v[10:11]
	v_add_f64 v[78:79], v[14:15], v[46:47]
	v_fma_f64 v[14:15], s[28:29], v[98:99], v[12:13]
	v_add_f64 v[88:89], v[10:11], v[42:43]
	v_fmac_f64_e32 v[12:13], s[24:25], v[98:99]
	v_mul_f64 v[10:11], v[100:101], s[4:5]
	v_add_f64 v[90:91], v[12:13], v[90:91]
	v_fma_f64 v[12:13], s[2:3], v[16:17], v[10:11]
	v_add_f64 v[92:93], v[12:13], v[92:93]
	v_mul_f64 v[12:13], v[96:97], s[2:3]
	v_add_f64 v[2:3], v[2:3], v[22:23]
	v_add_f64 v[86:87], v[14:15], v[86:87]
	v_fma_f64 v[14:15], s[0:1], v[98:99], v[12:13]
	v_fma_f64 v[10:11], v[16:17], s[2:3], -v[10:11]
	v_fmac_f64_e32 v[12:13], s[4:5], v[98:99]
	v_add_f64 v[58:59], v[20:21], v[30:31]
	v_add_f64 v[94:95], v[14:15], v[94:95]
	;; [unrolled: 1-line block ×4, first 2 shown]
	ds_write_b128 v253, v[52:55]
	ds_write_b128 v253, v[0:3] offset:2496
	ds_write_b128 v253, v[56:59] offset:4992
	;; [unrolled: 1-line block ×12, first 2 shown]
	s_waitcnt lgkmcnt(0)
	s_barrier
	ds_read_b128 v[0:3], v253
	v_mov_b32_e32 v62, v61
	v_accvgpr_read_b32 v10, a12
	v_mad_u64_u32 v[4:5], s[0:1], s11, v112, v[62:63]
	v_accvgpr_read_b32 v12, a14
	v_accvgpr_read_b32 v13, a15
	v_mov_b32_e32 v61, v4
	ds_read_b128 v[4:7], v253 offset:2496
	v_accvgpr_read_b32 v11, a13
	s_waitcnt lgkmcnt(1)
	v_mul_f64 v[8:9], v[12:13], v[2:3]
	s_mov_b32 s0, 0xfc7729e9
	v_fmac_f64_e32 v[8:9], v[10:11], v[0:1]
	s_mov_b32 s1, 0x3f402864
	v_mul_f64 v[0:1], v[12:13], v[0:1]
	v_mul_f64 v[52:53], v[8:9], s[0:1]
	v_fma_f64 v[0:1], v[10:11], v[2:3], -v[0:1]
	v_accvgpr_read_b32 v8, a0
	v_mul_f64 v[54:55], v[0:1], s[0:1]
	v_mad_u64_u32 v[0:1], s[2:3], s8, v8, 0
	v_mov_b32_e32 v2, v1
	v_mad_u64_u32 v[2:3], s[2:3], s9, v8, v[2:3]
	v_mov_b32_e32 v1, v2
	v_lshlrev_b64 v[2:3], 4, v[60:61]
	v_mov_b32_e32 v8, s7
	v_add_co_u32_e32 v2, vcc, s6, v2
	v_addc_co_u32_e32 v3, vcc, v8, v3, vcc
	v_lshlrev_b64 v[0:1], 4, v[0:1]
	v_accvgpr_read_b32 v13, a7
	v_add_co_u32_e32 v8, vcc, v2, v0
	v_accvgpr_read_b32 v12, a6
	v_addc_co_u32_e32 v9, vcc, v3, v1, vcc
	v_accvgpr_read_b32 v11, a5
	v_accvgpr_read_b32 v10, a4
	s_waitcnt lgkmcnt(0)
	v_mul_f64 v[0:1], v[12:13], v[6:7]
	v_mul_f64 v[2:3], v[12:13], v[4:5]
	v_fmac_f64_e32 v[0:1], v[10:11], v[4:5]
	v_fma_f64 v[2:3], v[10:11], v[6:7], -v[2:3]
	ds_read_b128 v[4:7], v253 offset:4992
	v_mov_b32_e32 v14, 0x9c0
	v_mad_u64_u32 v[12:13], s[2:3], s8, v14, v[8:9]
	s_mul_i32 s2, s9, 0x9c0
	v_accvgpr_read_b32 v16, a16
	v_mul_f64 v[0:1], v[0:1], s[0:1]
	v_mul_f64 v[2:3], v[2:3], s[0:1]
	v_add_u32_e32 v13, s2, v13
	v_accvgpr_read_b32 v18, a18
	v_accvgpr_read_b32 v19, a19
	global_store_dwordx4 v[8:9], v[52:55], off
	global_store_dwordx4 v[12:13], v[0:3], off
	ds_read_b128 v[0:3], v253 offset:7488
	v_accvgpr_read_b32 v17, a17
	s_waitcnt lgkmcnt(1)
	v_mul_f64 v[8:9], v[18:19], v[6:7]
	v_fmac_f64_e32 v[8:9], v[16:17], v[4:5]
	v_mul_f64 v[4:5], v[18:19], v[4:5]
	v_fma_f64 v[4:5], v[16:17], v[6:7], -v[4:5]
	v_mad_u64_u32 v[12:13], s[4:5], s8, v14, v[12:13]
	v_mul_f64 v[8:9], v[8:9], s[0:1]
	v_mul_f64 v[10:11], v[4:5], s[0:1]
	v_add_u32_e32 v13, s2, v13
	global_store_dwordx4 v[12:13], v[8:11], off
	v_accvgpr_read_b32 v6, a8
	v_accvgpr_read_b32 v8, a10
	;; [unrolled: 1-line block ×4, first 2 shown]
	s_waitcnt lgkmcnt(0)
	v_mul_f64 v[4:5], v[8:9], v[2:3]
	v_fmac_f64_e32 v[4:5], v[6:7], v[0:1]
	v_mul_f64 v[0:1], v[8:9], v[0:1]
	v_fma_f64 v[0:1], v[6:7], v[2:3], -v[0:1]
	v_mul_f64 v[6:7], v[0:1], s[0:1]
	ds_read_b128 v[0:3], v253 offset:9984
	v_mad_u64_u32 v[12:13], s[4:5], s8, v14, v[12:13]
	v_accvgpr_read_b32 v16, a32
	v_mul_f64 v[4:5], v[4:5], s[0:1]
	v_add_u32_e32 v13, s2, v13
	v_accvgpr_read_b32 v18, a34
	v_accvgpr_read_b32 v19, a35
	global_store_dwordx4 v[12:13], v[4:7], off
	ds_read_b128 v[4:7], v253 offset:12480
	v_accvgpr_read_b32 v17, a33
	s_waitcnt lgkmcnt(1)
	v_mul_f64 v[8:9], v[18:19], v[2:3]
	v_fmac_f64_e32 v[8:9], v[16:17], v[0:1]
	v_mul_f64 v[0:1], v[18:19], v[0:1]
	v_fma_f64 v[0:1], v[16:17], v[2:3], -v[0:1]
	v_mad_u64_u32 v[12:13], s[4:5], s8, v14, v[12:13]
	v_mul_f64 v[8:9], v[8:9], s[0:1]
	v_mul_f64 v[10:11], v[0:1], s[0:1]
	v_add_u32_e32 v13, s2, v13
	global_store_dwordx4 v[12:13], v[8:11], off
	v_mad_u64_u32 v[12:13], s[4:5], s8, v14, v[12:13]
	v_accvgpr_read_b32 v8, a20
	v_accvgpr_read_b32 v10, a22
	;; [unrolled: 1-line block ×4, first 2 shown]
	s_waitcnt lgkmcnt(0)
	v_mul_f64 v[0:1], v[10:11], v[6:7]
	v_mul_f64 v[2:3], v[10:11], v[4:5]
	v_fmac_f64_e32 v[0:1], v[8:9], v[4:5]
	v_fma_f64 v[2:3], v[8:9], v[6:7], -v[2:3]
	ds_read_b128 v[4:7], v253 offset:14976
	v_accvgpr_read_b32 v16, a40
	v_mul_f64 v[0:1], v[0:1], s[0:1]
	v_mul_f64 v[2:3], v[2:3], s[0:1]
	v_add_u32_e32 v13, s2, v13
	v_accvgpr_read_b32 v18, a42
	v_accvgpr_read_b32 v19, a43
	global_store_dwordx4 v[12:13], v[0:3], off
	ds_read_b128 v[0:3], v253 offset:17472
	v_accvgpr_read_b32 v17, a41
	s_waitcnt lgkmcnt(1)
	v_mul_f64 v[8:9], v[18:19], v[6:7]
	v_fmac_f64_e32 v[8:9], v[16:17], v[4:5]
	v_mul_f64 v[4:5], v[18:19], v[4:5]
	v_fma_f64 v[4:5], v[16:17], v[6:7], -v[4:5]
	v_mad_u64_u32 v[12:13], s[4:5], s8, v14, v[12:13]
	v_mul_f64 v[8:9], v[8:9], s[0:1]
	v_mul_f64 v[10:11], v[4:5], s[0:1]
	v_add_u32_e32 v13, s2, v13
	global_store_dwordx4 v[12:13], v[8:11], off
	v_accvgpr_read_b32 v6, a24
	v_accvgpr_read_b32 v8, a26
	;; [unrolled: 1-line block ×4, first 2 shown]
	s_waitcnt lgkmcnt(0)
	v_mul_f64 v[4:5], v[8:9], v[2:3]
	v_fmac_f64_e32 v[4:5], v[6:7], v[0:1]
	v_mul_f64 v[0:1], v[8:9], v[0:1]
	v_fma_f64 v[0:1], v[6:7], v[2:3], -v[0:1]
	v_mul_f64 v[6:7], v[0:1], s[0:1]
	ds_read_b128 v[0:3], v253 offset:19968
	v_mad_u64_u32 v[12:13], s[4:5], s8, v14, v[12:13]
	v_accvgpr_read_b32 v16, a48
	v_mul_f64 v[4:5], v[4:5], s[0:1]
	v_add_u32_e32 v13, s2, v13
	v_accvgpr_read_b32 v18, a50
	v_accvgpr_read_b32 v19, a51
	global_store_dwordx4 v[12:13], v[4:7], off
	ds_read_b128 v[4:7], v253 offset:22464
	v_accvgpr_read_b32 v17, a49
	s_waitcnt lgkmcnt(1)
	v_mul_f64 v[8:9], v[18:19], v[2:3]
	v_fmac_f64_e32 v[8:9], v[16:17], v[0:1]
	v_mul_f64 v[0:1], v[18:19], v[0:1]
	v_fma_f64 v[0:1], v[16:17], v[2:3], -v[0:1]
	v_mad_u64_u32 v[12:13], s[4:5], s8, v14, v[12:13]
	v_mul_f64 v[8:9], v[8:9], s[0:1]
	v_mul_f64 v[10:11], v[0:1], s[0:1]
	v_add_u32_e32 v13, s2, v13
	global_store_dwordx4 v[12:13], v[8:11], off
	v_mad_u64_u32 v[12:13], s[4:5], s8, v14, v[12:13]
	v_accvgpr_read_b32 v8, a28
	v_accvgpr_read_b32 v10, a30
	;; [unrolled: 1-line block ×4, first 2 shown]
	s_waitcnt lgkmcnt(0)
	v_mul_f64 v[0:1], v[10:11], v[6:7]
	v_mul_f64 v[2:3], v[10:11], v[4:5]
	v_fmac_f64_e32 v[0:1], v[8:9], v[4:5]
	v_fma_f64 v[2:3], v[8:9], v[6:7], -v[2:3]
	ds_read_b128 v[4:7], v253 offset:24960
	v_mul_f64 v[0:1], v[0:1], s[0:1]
	v_mul_f64 v[2:3], v[2:3], s[0:1]
	v_add_u32_e32 v13, s2, v13
	global_store_dwordx4 v[12:13], v[0:3], off
	ds_read_b128 v[0:3], v253 offset:27456
	s_waitcnt lgkmcnt(1)
	v_mul_f64 v[8:9], v[50:51], v[6:7]
	v_fmac_f64_e32 v[8:9], v[48:49], v[4:5]
	v_mul_f64 v[4:5], v[50:51], v[4:5]
	v_fma_f64 v[4:5], v[48:49], v[6:7], -v[4:5]
	v_mad_u64_u32 v[12:13], s[4:5], s8, v14, v[12:13]
	v_mul_f64 v[8:9], v[8:9], s[0:1]
	v_mul_f64 v[10:11], v[4:5], s[0:1]
	v_add_u32_e32 v13, s2, v13
	global_store_dwordx4 v[12:13], v[8:11], off
	v_accvgpr_read_b32 v6, a36
	v_accvgpr_read_b32 v8, a38
	;; [unrolled: 1-line block ×4, first 2 shown]
	s_waitcnt lgkmcnt(0)
	v_mul_f64 v[4:5], v[8:9], v[2:3]
	v_fmac_f64_e32 v[4:5], v[6:7], v[0:1]
	v_mul_f64 v[0:1], v[8:9], v[0:1]
	v_fma_f64 v[0:1], v[6:7], v[2:3], -v[0:1]
	v_mul_f64 v[6:7], v[0:1], s[0:1]
	ds_read_b128 v[0:3], v253 offset:29952
	v_mad_u64_u32 v[8:9], s[4:5], s8, v14, v[12:13]
	v_accvgpr_read_b32 v10, a44
	v_mul_f64 v[4:5], v[4:5], s[0:1]
	v_add_u32_e32 v9, s2, v9
	v_accvgpr_read_b32 v12, a46
	v_accvgpr_read_b32 v13, a47
	global_store_dwordx4 v[8:9], v[4:7], off
	v_accvgpr_read_b32 v11, a45
	s_waitcnt lgkmcnt(0)
	v_mul_f64 v[4:5], v[12:13], v[2:3]
	v_fmac_f64_e32 v[4:5], v[10:11], v[0:1]
	v_mul_f64 v[0:1], v[12:13], v[0:1]
	v_fma_f64 v[0:1], v[10:11], v[2:3], -v[0:1]
	v_mul_f64 v[4:5], v[4:5], s[0:1]
	v_mul_f64 v[6:7], v[0:1], s[0:1]
	v_mad_u64_u32 v[0:1], s[0:1], s8, v14, v[8:9]
	v_add_u32_e32 v1, s2, v1
	global_store_dwordx4 v[0:1], v[4:7], off
.LBB0_18:
	s_endpgm
	.section	.rodata,"a",@progbits
	.p2align	6, 0x0
	.amdhsa_kernel bluestein_single_fwd_len2028_dim1_dp_op_CI_CI
		.amdhsa_group_segment_fixed_size 32448
		.amdhsa_private_segment_fixed_size 0
		.amdhsa_kernarg_size 104
		.amdhsa_user_sgpr_count 6
		.amdhsa_user_sgpr_private_segment_buffer 1
		.amdhsa_user_sgpr_dispatch_ptr 0
		.amdhsa_user_sgpr_queue_ptr 0
		.amdhsa_user_sgpr_kernarg_segment_ptr 1
		.amdhsa_user_sgpr_dispatch_id 0
		.amdhsa_user_sgpr_flat_scratch_init 0
		.amdhsa_user_sgpr_kernarg_preload_length 0
		.amdhsa_user_sgpr_kernarg_preload_offset 0
		.amdhsa_user_sgpr_private_segment_size 0
		.amdhsa_uses_dynamic_stack 0
		.amdhsa_system_sgpr_private_segment_wavefront_offset 0
		.amdhsa_system_sgpr_workgroup_id_x 1
		.amdhsa_system_sgpr_workgroup_id_y 0
		.amdhsa_system_sgpr_workgroup_id_z 0
		.amdhsa_system_sgpr_workgroup_info 0
		.amdhsa_system_vgpr_workitem_id 0
		.amdhsa_next_free_vgpr 316
		.amdhsa_next_free_sgpr 48
		.amdhsa_accum_offset 256
		.amdhsa_reserve_vcc 1
		.amdhsa_reserve_flat_scratch 0
		.amdhsa_float_round_mode_32 0
		.amdhsa_float_round_mode_16_64 0
		.amdhsa_float_denorm_mode_32 3
		.amdhsa_float_denorm_mode_16_64 3
		.amdhsa_dx10_clamp 1
		.amdhsa_ieee_mode 1
		.amdhsa_fp16_overflow 0
		.amdhsa_tg_split 0
		.amdhsa_exception_fp_ieee_invalid_op 0
		.amdhsa_exception_fp_denorm_src 0
		.amdhsa_exception_fp_ieee_div_zero 0
		.amdhsa_exception_fp_ieee_overflow 0
		.amdhsa_exception_fp_ieee_underflow 0
		.amdhsa_exception_fp_ieee_inexact 0
		.amdhsa_exception_int_div_zero 0
	.end_amdhsa_kernel
	.text
.Lfunc_end0:
	.size	bluestein_single_fwd_len2028_dim1_dp_op_CI_CI, .Lfunc_end0-bluestein_single_fwd_len2028_dim1_dp_op_CI_CI
                                        ; -- End function
	.section	.AMDGPU.csdata,"",@progbits
; Kernel info:
; codeLenInByte = 24584
; NumSgprs: 52
; NumVgprs: 256
; NumAgprs: 60
; TotalNumVgprs: 316
; ScratchSize: 0
; MemoryBound: 0
; FloatMode: 240
; IeeeMode: 1
; LDSByteSize: 32448 bytes/workgroup (compile time only)
; SGPRBlocks: 6
; VGPRBlocks: 39
; NumSGPRsForWavesPerEU: 52
; NumVGPRsForWavesPerEU: 316
; AccumOffset: 256
; Occupancy: 1
; WaveLimiterHint : 1
; COMPUTE_PGM_RSRC2:SCRATCH_EN: 0
; COMPUTE_PGM_RSRC2:USER_SGPR: 6
; COMPUTE_PGM_RSRC2:TRAP_HANDLER: 0
; COMPUTE_PGM_RSRC2:TGID_X_EN: 1
; COMPUTE_PGM_RSRC2:TGID_Y_EN: 0
; COMPUTE_PGM_RSRC2:TGID_Z_EN: 0
; COMPUTE_PGM_RSRC2:TIDIG_COMP_CNT: 0
; COMPUTE_PGM_RSRC3_GFX90A:ACCUM_OFFSET: 63
; COMPUTE_PGM_RSRC3_GFX90A:TG_SPLIT: 0
	.text
	.p2alignl 6, 3212836864
	.fill 256, 4, 3212836864
	.type	__hip_cuid_49bb8ceab6abee47,@object ; @__hip_cuid_49bb8ceab6abee47
	.section	.bss,"aw",@nobits
	.globl	__hip_cuid_49bb8ceab6abee47
__hip_cuid_49bb8ceab6abee47:
	.byte	0                               ; 0x0
	.size	__hip_cuid_49bb8ceab6abee47, 1

	.ident	"AMD clang version 19.0.0git (https://github.com/RadeonOpenCompute/llvm-project roc-6.4.0 25133 c7fe45cf4b819c5991fe208aaa96edf142730f1d)"
	.section	".note.GNU-stack","",@progbits
	.addrsig
	.addrsig_sym __hip_cuid_49bb8ceab6abee47
	.amdgpu_metadata
---
amdhsa.kernels:
  - .agpr_count:     60
    .args:
      - .actual_access:  read_only
        .address_space:  global
        .offset:         0
        .size:           8
        .value_kind:     global_buffer
      - .actual_access:  read_only
        .address_space:  global
        .offset:         8
        .size:           8
        .value_kind:     global_buffer
      - .actual_access:  read_only
        .address_space:  global
        .offset:         16
        .size:           8
        .value_kind:     global_buffer
      - .actual_access:  read_only
        .address_space:  global
        .offset:         24
        .size:           8
        .value_kind:     global_buffer
      - .actual_access:  read_only
        .address_space:  global
        .offset:         32
        .size:           8
        .value_kind:     global_buffer
      - .offset:         40
        .size:           8
        .value_kind:     by_value
      - .address_space:  global
        .offset:         48
        .size:           8
        .value_kind:     global_buffer
      - .address_space:  global
        .offset:         56
        .size:           8
        .value_kind:     global_buffer
      - .address_space:  global
        .offset:         64
        .size:           8
        .value_kind:     global_buffer
      - .address_space:  global
        .offset:         72
        .size:           8
        .value_kind:     global_buffer
      - .offset:         80
        .size:           4
        .value_kind:     by_value
      - .address_space:  global
        .offset:         88
        .size:           8
        .value_kind:     global_buffer
      - .address_space:  global
        .offset:         96
        .size:           8
        .value_kind:     global_buffer
    .group_segment_fixed_size: 32448
    .kernarg_segment_align: 8
    .kernarg_segment_size: 104
    .language:       OpenCL C
    .language_version:
      - 2
      - 0
    .max_flat_workgroup_size: 156
    .name:           bluestein_single_fwd_len2028_dim1_dp_op_CI_CI
    .private_segment_fixed_size: 0
    .sgpr_count:     52
    .sgpr_spill_count: 0
    .symbol:         bluestein_single_fwd_len2028_dim1_dp_op_CI_CI.kd
    .uniform_work_group_size: 1
    .uses_dynamic_stack: false
    .vgpr_count:     316
    .vgpr_spill_count: 0
    .wavefront_size: 64
amdhsa.target:   amdgcn-amd-amdhsa--gfx90a
amdhsa.version:
  - 1
  - 2
...

	.end_amdgpu_metadata
